;; amdgpu-corpus repo=zjin-lcf/HeCBench kind=compiled arch=gfx1100 opt=O3
	.text
	.amdgcn_target "amdgcn-amd-amdhsa--gfx1100"
	.amdhsa_code_object_version 6
	.section	.text._ZL14largeNetKernelILi12ELi64EEvPKiS1_S1_PiS2_S2_P4edgeiS2_,"axG",@progbits,_ZL14largeNetKernelILi12ELi64EEvPKiS1_S1_PiS2_S2_P4edgeiS2_,comdat
	.globl	_ZL14largeNetKernelILi12ELi64EEvPKiS1_S1_PiS2_S2_P4edgeiS2_ ; -- Begin function _ZL14largeNetKernelILi12ELi64EEvPKiS1_S1_PiS2_S2_P4edgeiS2_
	.p2align	8
	.type	_ZL14largeNetKernelILi12ELi64EEvPKiS1_S1_PiS2_S2_P4edgeiS2_,@function
_ZL14largeNetKernelILi12ELi64EEvPKiS1_S1_PiS2_S2_P4edgeiS2_: ; @_ZL14largeNetKernelILi12ELi64EEvPKiS1_S1_PiS2_S2_P4edgeiS2_
; %bb.0:
	s_clause 0x2
	s_load_b256 s[16:23], s[0:1], 0x0
	s_load_b128 s[8:11], s[0:1], 0x20
	s_load_b64 s[12:13], s[0:1], 0x30
	v_dual_mov_b32 v12, 0 :: v_dual_and_b32 v11, 31, v0
	v_lshrrev_b32_e32 v10, 5, v0
	s_clause 0x1
	s_load_b64 s[24:25], s[0:1], 0x40
	s_load_b32 s6, s[0:1], 0x38
	v_mov_b32_e32 v14, 8
	v_lshlrev_b64 v[1:2], v11, -1
	v_cmp_eq_u32_e64 s0, 0, v11
	v_lshlrev_b32_e32 v3, 8, v10
	v_cmp_gt_u32_e64 s1, 3, v11
	v_dual_mov_b32 v13, 4 :: v_dual_mov_b32 v24, -1
	v_not_b32_e32 v16, v1
	v_perm_b32 v1, v11, v11, 0x5040100
	v_lshl_or_b32 v2, v11, 2, v3
	v_or_b32_e32 v15, 0x3000, v3
	v_lshl_or_b32 v17, v10, 2, 0x5400
	v_not_b32_e32 v18, v11
	v_or_b32_e32 v19, 32, v11
	v_or_b32_e32 v20, 0x200000, v1
	s_waitcnt lgkmcnt(0)
	s_add_u32 s7, s8, 12
	v_add_nc_u32_e32 v21, 0x3c00, v2
	v_perm_b32 v22, 3, v11, 0x5040100
	v_bfrev_b32_e32 v23, -2
	v_dual_mov_b32 v25, 1 :: v_dual_mov_b32 v26, 0x10000
	s_addc_u32 s14, s9, 0
	s_add_u32 s26, s10, 12
	s_addc_u32 s28, s11, 0
	s_mov_b32 s27, 0
                                        ; implicit-def: $vgpr1
	s_branch .LBB0_4
.LBB0_1:                                ;   in Loop: Header=BB0_4 Depth=1
	s_or_b32 exec_lo, exec_lo, s3
.LBB0_2:                                ;   in Loop: Header=BB0_4 Depth=1
	s_delay_alu instid0(SALU_CYCLE_1) | instskip(NEXT) | instid1(SALU_CYCLE_1)
	s_or_b32 exec_lo, exec_lo, s2
	s_xor_b32 s2, exec_lo, -1
.LBB0_3:                                ;   in Loop: Header=BB0_4 Depth=1
	s_or_b32 exec_lo, exec_lo, s29
	s_delay_alu instid0(SALU_CYCLE_1) | instskip(NEXT) | instid1(SALU_CYCLE_1)
	s_and_b32 s2, exec_lo, s2
	s_or_b32 s27, s2, s27
	s_delay_alu instid0(SALU_CYCLE_1)
	s_and_not1_b32 exec_lo, exec_lo, s27
	s_cbranch_execz .LBB0_107
.LBB0_4:                                ; =>This Loop Header: Depth=1
                                        ;     Child Loop BB0_13 Depth 2
                                        ;     Child Loop BB0_15 Depth 2
	;; [unrolled: 1-line block ×3, first 2 shown]
                                        ;       Child Loop BB0_39 Depth 3
                                        ;       Child Loop BB0_43 Depth 3
	;; [unrolled: 1-line block ×4, first 2 shown]
                                        ;         Child Loop BB0_57 Depth 4
                                        ;       Child Loop BB0_63 Depth 3
                                        ;       Child Loop BB0_68 Depth 3
	;; [unrolled: 1-line block ×3, first 2 shown]
                                        ;         Child Loop BB0_78 Depth 4
                                        ;           Child Loop BB0_83 Depth 5
                                        ;       Child Loop BB0_90 Depth 3
	s_and_saveexec_b32 s2, s0
	s_cbranch_execz .LBB0_8
; %bb.5:                                ;   in Loop: Header=BB0_4 Depth=1
	s_mov_b32 s4, exec_lo
	s_mov_b32 s3, exec_lo
	v_mbcnt_lo_u32_b32 v1, s4, 0
                                        ; implicit-def: $vgpr2
	s_delay_alu instid0(VALU_DEP_1)
	v_cmpx_eq_u32_e32 0, v1
	s_cbranch_execz .LBB0_7
; %bb.6:                                ;   in Loop: Header=BB0_4 Depth=1
	s_bcnt1_i32_b32 s29, s4
	s_getpc_b64 s[4:5]
	s_add_u32 s4, s4, _ZL8currpos1@rel32@lo+4
	s_addc_u32 s5, s5, _ZL8currpos1@rel32@hi+12
	v_mov_b32_e32 v2, s29
	global_atomic_add_u32 v2, v12, v2, s[4:5] glc
.LBB0_7:                                ;   in Loop: Header=BB0_4 Depth=1
	s_or_b32 exec_lo, exec_lo, s3
	s_waitcnt vmcnt(0)
	v_readfirstlane_b32 s3, v2
	s_delay_alu instid0(VALU_DEP_1)
	v_add_nc_u32_e32 v1, s3, v1
.LBB0_8:                                ;   in Loop: Header=BB0_4 Depth=1
	s_or_b32 exec_lo, exec_lo, s2
	ds_bpermute_b32 v1, v12, v1
	s_mov_b32 s2, -1
	s_mov_b32 s29, exec_lo
	s_waitcnt lgkmcnt(0)
	v_cmpx_gt_i32_e64 s6, v1
	s_cbranch_execz .LBB0_3
; %bb.9:                                ;   in Loop: Header=BB0_4 Depth=1
	v_ashrrev_i32_e32 v2, 31, v1
	s_delay_alu instid0(VALU_DEP_1) | instskip(NEXT) | instid1(VALU_DEP_1)
	v_lshlrev_b64 v[5:6], 2, v[1:2]
	v_add_co_u32 v2, vcc_lo, s16, v5
	s_delay_alu instid0(VALU_DEP_2)
	v_add_co_ci_u32_e32 v3, vcc_lo, s17, v6, vcc_lo
	global_load_b64 v[3:4], v[2:3], off
	s_waitcnt vmcnt(0)
	v_lshlrev_b32_e32 v2, 1, v3
	s_and_saveexec_b32 s2, s0
	s_cbranch_execz .LBB0_11
; %bb.10:                               ;   in Loop: Header=BB0_4 Depth=1
	v_add_co_u32 v5, vcc_lo, s22, v5
	v_add_co_ci_u32_e32 v6, vcc_lo, s23, v6, vcc_lo
	global_store_b32 v[5:6], v2, off
.LBB0_11:                               ;   in Loop: Header=BB0_4 Depth=1
	s_or_b32 exec_lo, exec_lo, s2
	v_sub_nc_u32_e32 v27, v4, v3
	s_mov_b32 s3, exec_lo
	s_delay_alu instid0(VALU_DEP_1) | instskip(NEXT) | instid1(VALU_DEP_1)
	v_bfe_i32 v4, v27, 0, 16
	v_cmpx_lt_i32_e64 v11, v4
	s_cbranch_execz .LBB0_16
; %bb.12:                               ;   in Loop: Header=BB0_4 Depth=1
	v_mov_b32_e32 v5, v11
	s_mov_b32 s4, 0
	.p2align	6
.LBB0_13:                               ;   Parent Loop BB0_4 Depth=1
                                        ; =>  This Inner Loop Header: Depth=2
	s_delay_alu instid0(VALU_DEP_1) | instskip(SKIP_1) | instid1(VALU_DEP_2)
	v_add_nc_u32_e32 v6, v5, v3
	v_lshl_add_u32 v5, v5, 16, 0x200000
	v_ashrrev_i32_e32 v7, 31, v6
	s_delay_alu instid0(VALU_DEP_2) | instskip(NEXT) | instid1(VALU_DEP_2)
	v_ashrrev_i32_e32 v5, 16, v5
	v_lshlrev_b64 v[7:8], 2, v[6:7]
	v_add_nc_u32_e32 v6, v6, v3
	s_delay_alu instid0(VALU_DEP_2) | instskip(NEXT) | instid1(VALU_DEP_3)
	v_add_co_u32 v7, vcc_lo, s18, v7
	v_add_co_ci_u32_e32 v8, vcc_lo, s19, v8, vcc_lo
	v_cmp_ge_i32_e32 vcc_lo, v5, v4
	global_load_b32 v8, v[7:8], off
	v_ashrrev_i32_e32 v7, 31, v6
	s_or_b32 s4, vcc_lo, s4
	s_delay_alu instid0(VALU_DEP_1) | instskip(NEXT) | instid1(VALU_DEP_1)
	v_lshlrev_b64 v[6:7], 2, v[6:7]
	v_add_co_u32 v6, s2, s8, v6
	s_delay_alu instid0(VALU_DEP_1)
	v_add_co_ci_u32_e64 v7, s2, s9, v7, s2
	s_waitcnt vmcnt(0)
	global_store_b32 v[6:7], v8, off
	s_and_not1_b32 exec_lo, exec_lo, s4
	s_cbranch_execnz .LBB0_13
; %bb.14:                               ;   in Loop: Header=BB0_4 Depth=1
	s_or_b32 exec_lo, exec_lo, s4
	v_mov_b32_e32 v5, v11
	s_mov_b32 s4, 0
	.p2align	6
.LBB0_15:                               ;   Parent Loop BB0_4 Depth=1
                                        ; =>  This Inner Loop Header: Depth=2
	s_delay_alu instid0(VALU_DEP_1) | instskip(SKIP_1) | instid1(VALU_DEP_2)
	v_add_nc_u32_e32 v6, v5, v3
	v_lshl_add_u32 v5, v5, 16, 0x200000
	v_ashrrev_i32_e32 v7, 31, v6
	s_delay_alu instid0(VALU_DEP_2) | instskip(NEXT) | instid1(VALU_DEP_2)
	v_ashrrev_i32_e32 v5, 16, v5
	v_lshlrev_b64 v[7:8], 2, v[6:7]
	v_add_nc_u32_e32 v6, v6, v3
	s_delay_alu instid0(VALU_DEP_2) | instskip(NEXT) | instid1(VALU_DEP_3)
	v_add_co_u32 v7, vcc_lo, s20, v7
	v_add_co_ci_u32_e32 v8, vcc_lo, s21, v8, vcc_lo
	v_cmp_ge_i32_e32 vcc_lo, v5, v4
	global_load_b32 v8, v[7:8], off
	v_ashrrev_i32_e32 v7, 31, v6
	s_or_b32 s4, vcc_lo, s4
	s_delay_alu instid0(VALU_DEP_1) | instskip(NEXT) | instid1(VALU_DEP_1)
	v_lshlrev_b64 v[6:7], 2, v[6:7]
	v_add_co_u32 v6, s2, s10, v6
	s_delay_alu instid0(VALU_DEP_1)
	v_add_co_ci_u32_e64 v7, s2, s11, v7, s2
	s_waitcnt vmcnt(0)
	global_store_b32 v[6:7], v8, off
	s_and_not1_b32 exec_lo, exec_lo, s4
	s_cbranch_execnz .LBB0_15
.LBB0_16:                               ;   in Loop: Header=BB0_4 Depth=1
	s_or_b32 exec_lo, exec_lo, s3
	v_lshlrev_b32_e32 v3, 16, v27
	s_mov_b32 s30, 0
	s_mov_b32 s3, 0
	s_mov_b32 s2, exec_lo
	s_delay_alu instid0(VALU_DEP_1)
	v_cmpx_lt_i32_e32 0x2ffff, v3
	s_xor_b32 s2, exec_lo, s2
	s_cbranch_execnz .LBB0_20
; %bb.17:                               ;   in Loop: Header=BB0_4 Depth=1
	s_and_not1_saveexec_b32 s2, s2
	s_cbranch_execnz .LBB0_27
.LBB0_18:                               ;   in Loop: Header=BB0_4 Depth=1
	s_or_b32 exec_lo, exec_lo, s2
	s_and_saveexec_b32 s2, s3
	s_delay_alu instid0(SALU_CYCLE_1)
	s_xor_b32 s31, exec_lo, s2
	s_cbranch_execnz .LBB0_28
.LBB0_19:                               ;   in Loop: Header=BB0_4 Depth=1
	s_or_b32 exec_lo, exec_lo, s31
	s_and_saveexec_b32 s2, s30
	s_delay_alu instid0(SALU_CYCLE_1)
	s_xor_b32 s2, exec_lo, s2
	s_cbranch_execz .LBB0_2
	s_branch .LBB0_105
.LBB0_20:                               ;   in Loop: Header=BB0_4 Depth=1
	s_mov_b32 s4, -1
	s_mov_b32 s3, exec_lo
	v_cmpx_eq_u32_e32 0x30000, v3
	s_cbranch_execz .LBB0_26
; %bb.21:                               ;   in Loop: Header=BB0_4 Depth=1
                                        ; implicit-def: $vgpr5
                                        ; implicit-def: $vgpr6
	s_and_saveexec_b32 s4, s1
	s_cbranch_execz .LBB0_23
; %bb.22:                               ;   in Loop: Header=BB0_4 Depth=1
	v_add_nc_u32_e32 v5, v2, v11
	s_delay_alu instid0(VALU_DEP_1) | instskip(NEXT) | instid1(VALU_DEP_1)
	v_ashrrev_i32_e32 v6, 31, v5
	v_lshlrev_b64 v[7:8], 2, v[5:6]
	s_delay_alu instid0(VALU_DEP_1) | instskip(NEXT) | instid1(VALU_DEP_2)
	v_add_co_u32 v5, vcc_lo, s8, v7
	v_add_co_ci_u32_e32 v6, vcc_lo, s9, v8, vcc_lo
	v_add_co_u32 v28, vcc_lo, s10, v7
	v_add_co_ci_u32_e32 v29, vcc_lo, s11, v8, vcc_lo
	v_add_co_u32 v7, vcc_lo, s12, v7
	global_load_b32 v6, v[5:6], off
	global_load_b32 v5, v[28:29], off
	v_add_co_ci_u32_e32 v8, vcc_lo, s13, v8, vcc_lo
	global_store_b32 v[7:8], v22, off
.LBB0_23:                               ;   in Loop: Header=BB0_4 Depth=1
	s_or_b32 exec_lo, exec_lo, s4
	s_waitcnt vmcnt(1)
	ds_bpermute_b32 v9, v13, v6
	s_waitcnt vmcnt(0)
	ds_bpermute_b32 v7, v13, v5
	ds_bpermute_b32 v28, v14, v6
	;; [unrolled: 1-line block ×3, first 2 shown]
	s_and_saveexec_b32 s4, s0
	s_delay_alu instid0(SALU_CYCLE_1)
	s_xor_b32 s4, exec_lo, s4
	s_cbranch_execz .LBB0_25
; %bb.24:                               ;   in Loop: Header=BB0_4 Depth=1
	v_ashrrev_i32_e32 v3, 31, v2
	s_delay_alu instid0(VALU_DEP_1) | instskip(SKIP_4) | instid1(VALU_DEP_3)
	v_lshlrev_b64 v[29:30], 2, v[2:3]
	s_waitcnt lgkmcnt(1)
	v_med3_i32 v3, v6, v9, v28
	s_waitcnt lgkmcnt(0)
	v_med3_i32 v9, v5, v7, v8
	v_add_co_u32 v5, vcc_lo, s7, v29
	v_add_co_ci_u32_e32 v6, vcc_lo, s14, v30, vcc_lo
	v_add_co_u32 v7, vcc_lo, s26, v29
	v_add_co_ci_u32_e32 v8, vcc_lo, s28, v30, vcc_lo
	global_store_b32 v[5:6], v3, off
	global_store_b32 v[7:8], v9, off
.LBB0_25:                               ;   in Loop: Header=BB0_4 Depth=1
	s_or_b32 exec_lo, exec_lo, s4
	s_delay_alu instid0(SALU_CYCLE_1)
	s_xor_b32 s4, exec_lo, -1
.LBB0_26:                               ;   in Loop: Header=BB0_4 Depth=1
	s_or_b32 exec_lo, exec_lo, s3
	s_delay_alu instid0(SALU_CYCLE_1)
	s_and_b32 s3, s4, exec_lo
                                        ; implicit-def: $vgpr3
	s_and_not1_saveexec_b32 s2, s2
	s_cbranch_execz .LBB0_18
.LBB0_27:                               ;   in Loop: Header=BB0_4 Depth=1
	v_cmp_ne_u32_e32 vcc_lo, 0x20000, v3
	s_and_not1_b32 s3, s3, exec_lo
	s_mov_b32 s30, exec_lo
	s_and_b32 s4, vcc_lo, exec_lo
	s_delay_alu instid0(SALU_CYCLE_1) | instskip(SKIP_2) | instid1(SALU_CYCLE_1)
	s_or_b32 s3, s3, s4
	s_or_b32 exec_lo, exec_lo, s2
	s_and_saveexec_b32 s2, s3
	s_xor_b32 s31, exec_lo, s2
	s_cbranch_execz .LBB0_19
.LBB0_28:                               ;   in Loop: Header=BB0_4 Depth=1
	s_mov_b32 s2, exec_lo
	v_cmpx_lt_i32_e32 32, v4
	s_xor_b32 s2, exec_lo, s2
	s_cbranch_execz .LBB0_34
; %bb.29:                               ;   in Loop: Header=BB0_4 Depth=1
	s_and_saveexec_b32 s3, s0
	s_cbranch_execz .LBB0_33
; %bb.30:                               ;   in Loop: Header=BB0_4 Depth=1
	s_mov_b32 s5, exec_lo
	s_mov_b32 s4, exec_lo
	v_mbcnt_lo_u32_b32 v3, s5, 0
                                        ; implicit-def: $vgpr4
	s_delay_alu instid0(VALU_DEP_1)
	v_cmpx_eq_u32_e32 0, v3
	s_cbranch_execz .LBB0_32
; %bb.31:                               ;   in Loop: Header=BB0_4 Depth=1
	s_bcnt1_i32_b32 s5, s5
	s_getpc_b64 s[34:35]
	s_add_u32 s34, s34, _ZL6wlsize@rel32@lo+4
	s_addc_u32 s35, s35, _ZL6wlsize@rel32@hi+12
	v_mov_b32_e32 v4, s5
	global_atomic_add_u32 v4, v12, v4, s[34:35] glc
.LBB0_32:                               ;   in Loop: Header=BB0_4 Depth=1
	s_or_b32 exec_lo, exec_lo, s4
	s_waitcnt vmcnt(0)
	v_readfirstlane_b32 s4, v4
	s_delay_alu instid0(VALU_DEP_1) | instskip(NEXT) | instid1(VALU_DEP_1)
	v_add_nc_u32_e32 v3, s4, v3
	v_ashrrev_i32_e32 v4, 31, v3
	s_delay_alu instid0(VALU_DEP_1) | instskip(NEXT) | instid1(VALU_DEP_1)
	v_lshlrev_b64 v[3:4], 2, v[3:4]
	v_add_co_u32 v3, vcc_lo, s24, v3
	s_delay_alu instid0(VALU_DEP_2)
	v_add_co_ci_u32_e32 v4, vcc_lo, s25, v4, vcc_lo
	global_store_b32 v[3:4], v1, off
.LBB0_33:                               ;   in Loop: Header=BB0_4 Depth=1
	s_or_b32 exec_lo, exec_lo, s3
                                        ; implicit-def: $vgpr27
.LBB0_34:                               ;   in Loop: Header=BB0_4 Depth=1
	s_and_not1_saveexec_b32 s33, s2
	s_cbranch_execz .LBB0_104
; %bb.35:                               ;   in Loop: Header=BB0_4 Depth=1
	v_ashrrev_i32_e32 v3, 31, v2
	s_delay_alu instid0(VALU_DEP_1) | instskip(SKIP_1) | instid1(VALU_DEP_1)
	v_lshlrev_b64 v[3:4], 2, v[2:3]
	s_waitcnt lgkmcnt(1)
	v_add_co_u32 v28, vcc_lo, s8, v3
	s_delay_alu instid0(VALU_DEP_2)
	v_add_co_ci_u32_e32 v29, vcc_lo, s9, v4, vcc_lo
	v_add_co_u32 v30, vcc_lo, s10, v3
	v_add_co_ci_u32_e32 v31, vcc_lo, s11, v4, vcc_lo
	v_add_co_u32 v32, vcc_lo, s12, v3
	v_add_co_ci_u32_e32 v33, vcc_lo, s13, v4, vcc_lo
	s_branch .LBB0_37
.LBB0_36:                               ;   in Loop: Header=BB0_37 Depth=2
	v_cndmask_b32_e64 v3, 0, 1, s3
	;;#ASMSTART
	;;#ASMEND
	s_delay_alu instid0(VALU_DEP_1)
	v_cmp_ne_u32_e32 vcc_lo, 0, v3
	s_cbranch_vccz .LBB0_104
.LBB0_37:                               ;   Parent Loop BB0_4 Depth=1
                                        ; =>  This Loop Header: Depth=2
                                        ;       Child Loop BB0_39 Depth 3
                                        ;       Child Loop BB0_43 Depth 3
                                        ;       Child Loop BB0_48 Depth 3
                                        ;       Child Loop BB0_52 Depth 3
                                        ;         Child Loop BB0_57 Depth 4
                                        ;       Child Loop BB0_63 Depth 3
                                        ;       Child Loop BB0_68 Depth 3
	;; [unrolled: 1-line block ×3, first 2 shown]
                                        ;         Child Loop BB0_78 Depth 4
                                        ;           Child Loop BB0_83 Depth 5
                                        ;       Child Loop BB0_90 Depth 3
	v_bfe_i32 v34, v27, 0, 16
	s_mov_b32 s34, exec_lo
	s_delay_alu instid0(VALU_DEP_1) | instskip(NEXT) | instid1(VALU_DEP_1)
	v_add_nc_u32_e32 v35, -1, v34
	v_bfe_i32 v3, v35, 0, 16
	s_delay_alu instid0(VALU_DEP_1)
	v_cmpx_gt_i32_e64 v3, v11
	s_cbranch_execz .LBB0_49
; %bb.38:                               ;   in Loop: Header=BB0_37 Depth=2
	v_mov_b32_e32 v4, v11
	s_mov_b32 s2, 0
.LBB0_39:                               ;   Parent Loop BB0_4 Depth=1
                                        ;     Parent Loop BB0_37 Depth=2
                                        ; =>    This Inner Loop Header: Depth=3
	s_delay_alu instid0(VALU_DEP_1) | instskip(SKIP_1) | instid1(VALU_DEP_2)
	v_bfe_i32 v5, v4, 0, 16
	v_add_nc_u16 v4, v4, 32
	v_lshl_add_u32 v5, v5, 2, v15
	s_delay_alu instid0(VALU_DEP_2) | instskip(SKIP_3) | instid1(SALU_CYCLE_1)
	v_bfe_i32 v6, v4, 0, 16
	ds_store_b32 v5, v23
	v_cmp_le_i32_e32 vcc_lo, v3, v6
	s_or_b32 s2, vcc_lo, s2
	s_and_not1_b32 exec_lo, exec_lo, s2
	s_cbranch_execnz .LBB0_39
; %bb.40:                               ;   in Loop: Header=BB0_37 Depth=2
	s_or_b32 exec_lo, exec_lo, s2
	v_add_nc_u32_e32 v6, v3, v18
	v_mov_b32_e32 v4, v11
	s_mov_b32 s35, exec_lo
	s_delay_alu instid0(VALU_DEP_2)
	v_cmp_gt_u32_e32 vcc_lo, 0x2e0, v6
	v_cmpx_lt_u32_e32 0x2df, v6
	s_cbranch_execz .LBB0_46
; %bb.41:                               ;   in Loop: Header=BB0_37 Depth=2
	v_lshrrev_b32_e32 v5, 5, v6
	v_cmp_lt_u32_e64 s2, 0x1fffff, v6
	s_delay_alu instid0(VALU_DEP_2) | instskip(SKIP_2) | instid1(VALU_DEP_3)
	v_lshlrev_b16 v4, 5, v5
	v_lshrrev_b16 v7, 10, v5
	v_cmp_lt_u16_e64 s3, 0x7ff, v5
	v_add_nc_u16 v4, v19, v4
	s_delay_alu instid0(VALU_DEP_3) | instskip(NEXT) | instid1(VALU_DEP_3)
	v_and_b32_e32 v7, 1, v7
	s_or_b32 s2, s3, s2
	s_delay_alu instid0(VALU_DEP_2) | instskip(SKIP_1) | instid1(VALU_DEP_3)
	v_cmp_lt_i16_e64 s4, v4, v19
	v_mov_b32_e32 v4, v11
	v_cmp_eq_u32_e64 s5, 1, v7
	s_delay_alu instid0(VALU_DEP_3) | instskip(NEXT) | instid1(VALU_DEP_1)
	s_or_b32 s3, s4, s3
	s_or_b32 s2, s2, s5
	s_delay_alu instid0(SALU_CYCLE_1) | instskip(SKIP_2) | instid1(SALU_CYCLE_1)
	s_or_b32 s3, s3, s2
	s_mov_b32 s2, -1
	s_xor_b32 s4, s3, -1
	s_and_saveexec_b32 s3, s4
	s_cbranch_execz .LBB0_45
; %bb.42:                               ;   in Loop: Header=BB0_37 Depth=2
	v_dual_mov_b32 v7, v20 :: v_dual_add_nc_u32 v4, 1, v5
	s_mov_b32 s4, 0
	s_delay_alu instid0(VALU_DEP_1) | instskip(NEXT) | instid1(VALU_DEP_1)
	v_and_b32_e32 v5, 0xffffffe, v4
	v_mov_b32_e32 v6, v5
	.p2align	6
.LBB0_43:                               ;   Parent Loop BB0_4 Depth=1
                                        ;     Parent Loop BB0_37 Depth=2
                                        ; =>    This Inner Loop Header: Depth=3
	s_delay_alu instid0(VALU_DEP_1)
	v_add_nc_u32_e32 v6, -2, v6
	s_waitcnt lgkmcnt(1)
	v_bfe_i32 v8, v7, 0, 16
	v_lshl_or_b32 v9, v10, 7, 0x4800
	v_ashrrev_i32_e32 v36, 16, v7
	v_pk_add_u16 v37, v7, 1 op_sel_hi:[1,0]
	v_cmp_eq_u32_e64 s2, 0, v6
	v_pk_add_u16 v7, v7, 64 op_sel_hi:[1,0]
	v_lshl_add_u32 v8, v8, 1, v9
	v_lshl_add_u32 v9, v36, 1, v9
	ds_store_b16 v8, v37
	ds_store_b16_d16_hi v9, v37
	s_or_b32 s4, s2, s4
	s_delay_alu instid0(SALU_CYCLE_1)
	s_and_not1_b32 exec_lo, exec_lo, s4
	s_cbranch_execnz .LBB0_43
; %bb.44:                               ;   in Loop: Header=BB0_37 Depth=2
	s_or_b32 exec_lo, exec_lo, s4
	v_lshlrev_b16 v6, 5, v5
	v_cmp_ne_u32_e64 s2, v4, v5
	s_delay_alu instid0(VALU_DEP_2) | instskip(NEXT) | instid1(VALU_DEP_2)
	v_or_b32_e32 v4, v6, v11
	s_or_not1_b32 s2, s2, exec_lo
.LBB0_45:                               ;   in Loop: Header=BB0_37 Depth=2
	s_or_b32 exec_lo, exec_lo, s3
	s_delay_alu instid0(SALU_CYCLE_1) | instskip(SKIP_1) | instid1(SALU_CYCLE_1)
	s_and_not1_b32 s3, vcc_lo, exec_lo
	s_and_b32 s2, s2, exec_lo
	s_or_b32 vcc_lo, s3, s2
.LBB0_46:                               ;   in Loop: Header=BB0_37 Depth=2
	s_or_b32 exec_lo, exec_lo, s35
	s_delay_alu instid0(SALU_CYCLE_1)
	s_and_b32 exec_lo, exec_lo, vcc_lo
	s_cbranch_execz .LBB0_49
; %bb.47:                               ;   in Loop: Header=BB0_37 Depth=2
	s_mov_b32 s2, 0
	.p2align	6
.LBB0_48:                               ;   Parent Loop BB0_4 Depth=1
                                        ;     Parent Loop BB0_37 Depth=2
                                        ; =>    This Inner Loop Header: Depth=3
	v_add_nc_u16 v5, v4, 1
	v_bfe_i32 v6, v4, 0, 16
	v_add_nc_u16 v4, v4, 32
	s_waitcnt lgkmcnt(1)
	v_lshlrev_b32_e32 v8, 7, v10
	s_delay_alu instid0(VALU_DEP_2) | instskip(NEXT) | instid1(VALU_DEP_2)
	v_bfe_i32 v7, v4, 0, 16
	v_lshl_add_u32 v6, v6, 1, v8
	s_delay_alu instid0(VALU_DEP_2) | instskip(SKIP_2) | instid1(SALU_CYCLE_1)
	v_cmp_le_i32_e32 vcc_lo, v3, v7
	ds_store_b16 v6, v5 offset:18432
	s_or_b32 s2, vcc_lo, s2
	s_and_not1_b32 exec_lo, exec_lo, s2
	s_cbranch_execnz .LBB0_48
.LBB0_49:                               ;   in Loop: Header=BB0_37 Depth=2
	s_or_b32 exec_lo, exec_lo, s34
	s_delay_alu instid0(SALU_CYCLE_1)
	s_mov_b32 s2, exec_lo
	v_cmpx_lt_i16_e32 1, v27
	s_cbranch_execz .LBB0_61
; %bb.50:                               ;   in Loop: Header=BB0_37 Depth=2
	v_dual_mov_b32 v4, 0 :: v_dual_mov_b32 v3, v35
	s_mov_b32 s3, 0
	s_mov_b32 s4, 0
	s_branch .LBB0_52
.LBB0_51:                               ;   in Loop: Header=BB0_52 Depth=3
	s_or_b32 exec_lo, exec_lo, s5
	s_and_b32 s4, 0xffff, s4
	s_delay_alu instid0(SALU_CYCLE_1) | instskip(NEXT) | instid1(SALU_CYCLE_1)
	s_add_i32 s4, s4, 1
	s_sext_i32_i16 s5, s4
	s_delay_alu instid0(SALU_CYCLE_1) | instskip(SKIP_1) | instid1(SALU_CYCLE_1)
	v_cmp_ge_i32_e32 vcc_lo, s5, v35
	s_or_b32 s3, vcc_lo, s3
	s_and_not1_b32 exec_lo, exec_lo, s3
	s_cbranch_execz .LBB0_61
.LBB0_52:                               ;   Parent Loop BB0_4 Depth=1
                                        ;     Parent Loop BB0_37 Depth=2
                                        ; =>    This Loop Header: Depth=3
                                        ;         Child Loop BB0_57 Depth 4
	s_and_saveexec_b32 s5, s0
	s_cbranch_execz .LBB0_54
; %bb.53:                               ;   in Loop: Header=BB0_52 Depth=3
	ds_store_b32 v17, v23
.LBB0_54:                               ;   in Loop: Header=BB0_52 Depth=3
	s_or_b32 exec_lo, exec_lo, s5
	s_delay_alu instid0(SALU_CYCLE_1)
	s_mov_b32 s5, exec_lo
	v_cmpx_gt_i16_e64 v3, v11
	s_cbranch_execz .LBB0_59
; %bb.55:                               ;   in Loop: Header=BB0_52 Depth=3
	s_waitcnt lgkmcnt(0)
	v_bfe_i32 v5, v4, 0, 16
	s_mov_b32 s34, 0
	s_delay_alu instid0(VALU_DEP_1) | instskip(NEXT) | instid1(VALU_DEP_1)
	v_ashrrev_i32_e32 v6, 31, v5
	v_lshlrev_b64 v[5:6], 2, v[5:6]
	s_delay_alu instid0(VALU_DEP_1) | instskip(SKIP_1) | instid1(VALU_DEP_2)
	v_add_co_u32 v7, vcc_lo, v28, v5
	s_waitcnt lgkmcnt(0)
	v_add_co_ci_u32_e32 v8, vcc_lo, v29, v6, vcc_lo
	v_add_co_u32 v36, vcc_lo, v30, v5
	v_add_co_ci_u32_e32 v37, vcc_lo, v31, v6, vcc_lo
	global_load_b32 v5, v[7:8], off
	global_load_b32 v6, v[36:37], off
	v_mov_b32_e32 v7, v11
	v_mov_b32_e32 v8, v11
	s_branch .LBB0_57
.LBB0_56:                               ;   in Loop: Header=BB0_57 Depth=4
	s_or_b32 exec_lo, exec_lo, s35
	v_lshl_add_u32 v7, v36, 9, v7
	v_add_nc_u16 v8, v8, 32
	ds_min_i32 v17, v7
	v_cmp_ge_i16_e32 vcc_lo, v8, v3
	v_bfe_i32 v7, v8, 0, 16
	s_or_b32 s34, vcc_lo, s34
	s_delay_alu instid0(SALU_CYCLE_1)
	s_and_not1_b32 exec_lo, exec_lo, s34
	s_cbranch_execz .LBB0_59
.LBB0_57:                               ;   Parent Loop BB0_4 Depth=1
                                        ;     Parent Loop BB0_37 Depth=2
                                        ;       Parent Loop BB0_52 Depth=3
                                        ; =>      This Inner Loop Header: Depth=4
	s_delay_alu instid0(VALU_DEP_1) | instskip(SKIP_2) | instid1(VALU_DEP_1)
	v_bfe_i32 v8, v8, 0, 16
	v_lshlrev_b32_e32 v9, 7, v10
	s_mov_b32 s35, exec_lo
	v_lshl_add_u32 v9, v8, 1, v9
	ds_load_u16 v37, v9 offset:18432
	v_lshl_add_u32 v9, v8, 2, v15
	ds_load_b32 v36, v9
	s_waitcnt lgkmcnt(1)
	v_bfe_i32 v37, v37, 0, 16
	s_delay_alu instid0(VALU_DEP_1) | instskip(NEXT) | instid1(VALU_DEP_1)
	v_ashrrev_i32_e32 v38, 31, v37
	v_lshlrev_b64 v[37:38], 2, v[37:38]
	s_delay_alu instid0(VALU_DEP_1) | instskip(NEXT) | instid1(VALU_DEP_2)
	v_add_co_u32 v39, vcc_lo, v28, v37
	v_add_co_ci_u32_e32 v40, vcc_lo, v29, v38, vcc_lo
	v_add_co_u32 v37, vcc_lo, v30, v37
	v_add_co_ci_u32_e32 v38, vcc_lo, v31, v38, vcc_lo
	global_load_b32 v39, v[39:40], off
	global_load_b32 v37, v[37:38], off
	s_waitcnt vmcnt(1)
	v_sub_nc_u32_e32 v38, v5, v39
	s_waitcnt vmcnt(0)
	v_sub_nc_u32_e32 v37, v6, v37
	s_delay_alu instid0(VALU_DEP_2) | instskip(NEXT) | instid1(VALU_DEP_2)
	v_sub_nc_u32_e32 v39, 0, v38
	v_sub_nc_u32_e32 v40, 0, v37
	s_delay_alu instid0(VALU_DEP_2) | instskip(NEXT) | instid1(VALU_DEP_2)
	v_max_i32_e32 v38, v38, v39
	v_max_i32_e32 v37, v37, v40
	s_delay_alu instid0(VALU_DEP_1) | instskip(SKIP_1) | instid1(VALU_DEP_1)
	v_add_nc_u32_e32 v37, v37, v38
	s_waitcnt lgkmcnt(0)
	v_cmpx_gt_i32_e64 v36, v37
	s_cbranch_execz .LBB0_56
; %bb.58:                               ;   in Loop: Header=BB0_57 Depth=4
	v_lshlrev_b32_e32 v36, 1, v8
	s_delay_alu instid0(VALU_DEP_1)
	v_lshl_add_u32 v38, v10, 7, v36
	v_mov_b32_e32 v36, v37
	ds_store_b32 v9, v37
	ds_store_b16 v38, v4 offset:19968
	s_branch .LBB0_56
.LBB0_59:                               ;   in Loop: Header=BB0_52 Depth=3
	s_or_b32 exec_lo, exec_lo, s5
	s_waitcnt lgkmcnt(0)
	ds_load_b32 v4, v17
	v_lshlrev_b32_e32 v7, 7, v10
	v_add_nc_u16 v3, v3, -1
	s_waitcnt lgkmcnt(0)
	v_ashrrev_i32_e32 v5, 31, v4
	s_delay_alu instid0(VALU_DEP_1) | instskip(NEXT) | instid1(VALU_DEP_1)
	v_lshrrev_b32_e32 v5, 23, v5
	v_add_nc_u32_e32 v5, v4, v5
	s_delay_alu instid0(VALU_DEP_1) | instskip(NEXT) | instid1(VALU_DEP_1)
	v_and_b32_e32 v5, 0xfe00, v5
	v_sub_nc_u32_e32 v4, v4, v5
	s_delay_alu instid0(VALU_DEP_1) | instskip(NEXT) | instid1(VALU_DEP_1)
	v_bfe_i32 v5, v4, 0, 16
	v_lshl_add_u32 v6, v5, 1, v7
	ds_load_u16 v4, v6 offset:18432
	s_and_saveexec_b32 s5, s0
	s_cbranch_execz .LBB0_51
; %bb.60:                               ;   in Loop: Header=BB0_52 Depth=3
	v_bfe_i32 v8, v3, 0, 16
	v_add_nc_u32_e32 v9, 0x4e00, v7
	s_sext_i32_i16 s34, s4
	v_add_nc_u32_e32 v6, 0x4800, v6
	s_ashr_i32 s35, s34, 31
	v_lshlrev_b32_e32 v36, 1, v8
	v_lshl_add_u32 v8, v8, 2, v15
	s_lshl_b64 s[34:35], s[34:35], 2
	s_delay_alu instid0(VALU_DEP_2)
	v_add_nc_u32_e32 v37, v9, v36
	v_lshl_add_u32 v9, v5, 1, v9
	v_add_nc_u32_e32 v7, v36, v7
	v_lshl_add_u32 v5, v5, 2, v15
	ds_load_b32 v36, v8
	ds_load_u16 v37, v37
	ds_load_u16 v38, v9
	s_waitcnt lgkmcnt(1)
	ds_store_b16 v9, v37
	ds_load_u16 v9, v7 offset:18432
	v_add_co_u32 v7, vcc_lo, v32, s34
	v_add_co_ci_u32_e32 v8, vcc_lo, s35, v33, vcc_lo
	s_waitcnt lgkmcnt(2)
	v_perm_b32 v37, v4, v38, 0x5040100
	global_store_b32 v[7:8], v37, off
	ds_store_b32 v5, v36
	s_waitcnt lgkmcnt(1)
	ds_store_b16 v6, v9
	s_branch .LBB0_51
.LBB0_61:                               ;   in Loop: Header=BB0_37 Depth=2
	s_or_b32 exec_lo, exec_lo, s2
	v_cmp_gt_i16_e32 vcc_lo, v27, v11
	s_and_saveexec_b32 s3, vcc_lo
	s_cbranch_execz .LBB0_65
; %bb.62:                               ;   in Loop: Header=BB0_37 Depth=2
	v_dual_mov_b32 v3, v21 :: v_dual_and_b32 v34, 0xffff, v27
	s_waitcnt lgkmcnt(0)
	v_mov_b32_e32 v4, v11
	s_mov_b32 s4, 0
.LBB0_63:                               ;   Parent Loop BB0_4 Depth=1
                                        ;     Parent Loop BB0_37 Depth=2
                                        ; =>    This Inner Loop Header: Depth=3
	s_delay_alu instid0(VALU_DEP_1) | instskip(SKIP_3) | instid1(VALU_DEP_1)
	v_add_nc_u32_e32 v4, 32, v4
	ds_store_b32 v3, v12
	v_add_nc_u32_e32 v3, 0x80, v3
	v_cmp_ge_u32_e64 s2, v4, v34
	s_or_b32 s4, s2, s4
	s_delay_alu instid0(SALU_CYCLE_1)
	s_and_not1_b32 exec_lo, exec_lo, s4
	s_cbranch_execnz .LBB0_63
; %bb.64:                               ;   in Loop: Header=BB0_37 Depth=2
	s_or_b32 exec_lo, exec_lo, s4
	v_add_nc_u32_e32 v35, -1, v34
.LBB0_65:                               ;   in Loop: Header=BB0_37 Depth=2
	s_or_b32 exec_lo, exec_lo, s3
	s_delay_alu instid0(SALU_CYCLE_1) | instskip(NEXT) | instid1(VALU_DEP_1)
	s_mov_b32 s3, exec_lo
	v_cmpx_gt_i32_e64 v35, v11
	s_cbranch_execz .LBB0_72
; %bb.66:                               ;   in Loop: Header=BB0_37 Depth=2
	v_mov_b32_e32 v36, v11
	s_mov_b32 s4, 0
	s_branch .LBB0_68
.LBB0_67:                               ;   in Loop: Header=BB0_68 Depth=3
	s_or_b32 exec_lo, exec_lo, s2
	v_add_nc_u16 v36, v36, 32
	s_delay_alu instid0(VALU_DEP_1) | instskip(NEXT) | instid1(VALU_DEP_1)
	v_bfe_i32 v3, v36, 0, 16
	v_cmp_le_i32_e64 s2, v35, v3
	s_delay_alu instid0(VALU_DEP_1) | instskip(NEXT) | instid1(SALU_CYCLE_1)
	s_or_b32 s4, s2, s4
	s_and_not1_b32 exec_lo, exec_lo, s4
	s_cbranch_execz .LBB0_72
.LBB0_68:                               ;   Parent Loop BB0_4 Depth=1
                                        ;     Parent Loop BB0_37 Depth=2
                                        ; =>    This Inner Loop Header: Depth=3
	s_delay_alu instid0(VALU_DEP_1) | instskip(SKIP_1) | instid1(VALU_DEP_1)
	v_bfe_i32 v37, v36, 0, 16
	s_mov_b32 s34, exec_lo
	v_ashrrev_i32_e32 v38, 31, v37
	s_waitcnt lgkmcnt(0)
	s_delay_alu instid0(VALU_DEP_1) | instskip(SKIP_1) | instid1(VALU_DEP_2)
	v_lshlrev_b64 v[3:4], 2, v[37:38]
	v_lshl_add_u32 v37, v37, 2, v15
	v_add_co_u32 v3, s2, v32, v3
	s_delay_alu instid0(VALU_DEP_1) | instskip(SKIP_4) | instid1(VALU_DEP_2)
	v_add_co_ci_u32_e64 v4, s2, v33, v4, s2
	global_load_b32 v4, v[3:4], off
	s_waitcnt vmcnt(0)
	v_lshrrev_b32_e32 v3, 16, v4
	v_bfe_i32 v5, v4, 0, 16
	v_bfe_i32 v3, v3, 0, 16
	s_delay_alu instid0(VALU_DEP_2) | instskip(NEXT) | instid1(VALU_DEP_2)
	v_ashrrev_i32_e32 v6, 31, v5
	v_ashrrev_i32_e32 v4, 31, v3
	s_delay_alu instid0(VALU_DEP_2) | instskip(NEXT) | instid1(VALU_DEP_2)
	v_lshlrev_b64 v[6:7], 2, v[5:6]
	v_lshlrev_b64 v[8:9], 2, v[3:4]
	s_delay_alu instid0(VALU_DEP_1) | instskip(NEXT) | instid1(VALU_DEP_1)
	v_add_co_u32 v38, s2, v28, v8
	v_add_co_ci_u32_e64 v39, s2, v29, v9, s2
	s_delay_alu instid0(VALU_DEP_4) | instskip(NEXT) | instid1(VALU_DEP_1)
	v_add_co_u32 v40, s2, v28, v6
	v_add_co_ci_u32_e64 v41, s2, v29, v7, s2
	s_clause 0x1
	global_load_b32 v4, v[38:39], off
	global_load_b32 v38, v[40:41], off
	ds_store_b32 v37, v24
	s_waitcnt vmcnt(0)
	v_cmp_ne_u32_e64 s5, v4, v38
	v_cmpx_eq_u32_e64 v4, v38
	s_cbranch_execz .LBB0_70
; %bb.69:                               ;   in Loop: Header=BB0_68 Depth=3
	v_add_co_u32 v8, s2, v30, v8
	s_delay_alu instid0(VALU_DEP_1) | instskip(SKIP_1) | instid1(VALU_DEP_1)
	v_add_co_ci_u32_e64 v9, s2, v31, v9, s2
	v_add_co_u32 v6, s2, v30, v6
	v_add_co_ci_u32_e64 v7, s2, v31, v7, s2
	s_and_not1_b32 s5, s5, exec_lo
	s_clause 0x1
	global_load_b32 v4, v[8:9], off
	global_load_b32 v6, v[6:7], off
	s_waitcnt vmcnt(0)
	v_cmp_ne_u32_e64 s2, v4, v6
	s_delay_alu instid0(VALU_DEP_1) | instskip(NEXT) | instid1(SALU_CYCLE_1)
	s_and_b32 s2, s2, exec_lo
	s_or_b32 s5, s5, s2
.LBB0_70:                               ;   in Loop: Header=BB0_68 Depth=3
	s_or_b32 exec_lo, exec_lo, s34
	s_delay_alu instid0(VALU_DEP_2)
	s_and_saveexec_b32 s2, s5
	s_cbranch_execz .LBB0_67
; %bb.71:                               ;   in Loop: Header=BB0_68 Depth=3
	v_lshl_add_u32 v4, v10, 8, 0x3c00
	v_lshlrev_b32_e32 v7, 10, v10
	s_delay_alu instid0(VALU_DEP_2)
	v_lshl_add_u32 v6, v5, 2, v4
	v_lshlrev_b32_e32 v5, 4, v5
	v_lshl_add_u32 v4, v3, 2, v4
	v_lshlrev_b32_e32 v3, 4, v3
	ds_add_rtn_u32 v6, v6, v25
	s_waitcnt lgkmcnt(0)
	v_lshlrev_b32_e32 v6, 1, v6
	s_delay_alu instid0(VALU_DEP_1) | instskip(SKIP_4) | instid1(VALU_DEP_1)
	v_add3_u32 v5, v7, v5, v6
	ds_store_b16 v5, v36
	ds_add_rtn_u32 v4, v4, v25
	s_waitcnt lgkmcnt(0)
	v_lshlrev_b32_e32 v4, 1, v4
	v_add3_u32 v3, v7, v3, v4
	ds_store_b16 v3, v36
	s_branch .LBB0_67
.LBB0_72:                               ;   in Loop: Header=BB0_37 Depth=2
	s_or_b32 exec_lo, exec_lo, s3
	s_and_saveexec_b32 s2, vcc_lo
	s_cbranch_execz .LBB0_87
; %bb.73:                               ;   in Loop: Header=BB0_37 Depth=2
	v_mov_b32_e32 v3, v11
	s_mov_b32 s3, 0
	s_branch .LBB0_75
.LBB0_74:                               ;   in Loop: Header=BB0_75 Depth=3
	s_or_b32 exec_lo, exec_lo, s4
	v_add_nc_u16 v3, v3, 32
	s_delay_alu instid0(VALU_DEP_1) | instskip(SKIP_1) | instid1(SALU_CYCLE_1)
	v_cmp_ge_i16_e32 vcc_lo, v3, v27
	s_or_b32 s3, vcc_lo, s3
	s_and_not1_b32 exec_lo, exec_lo, s3
	s_cbranch_execz .LBB0_87
.LBB0_75:                               ;   Parent Loop BB0_4 Depth=1
                                        ;     Parent Loop BB0_37 Depth=2
                                        ; =>    This Loop Header: Depth=3
                                        ;         Child Loop BB0_78 Depth 4
                                        ;           Child Loop BB0_83 Depth 5
	s_delay_alu instid0(VALU_DEP_1) | instskip(SKIP_2) | instid1(VALU_DEP_1)
	v_bfe_i32 v3, v3, 0, 16
	s_mov_b32 s4, exec_lo
	s_waitcnt lgkmcnt(0)
	v_lshlrev_b32_e32 v4, 2, v3
	s_delay_alu instid0(VALU_DEP_1)
	v_lshl_add_u32 v4, v10, 8, v4
	ds_load_b32 v8, v4 offset:15360
	s_waitcnt lgkmcnt(0)
	v_cmpx_lt_i32_e32 1, v8
	s_cbranch_execz .LBB0_74
; %bb.76:                               ;   in Loop: Header=BB0_75 Depth=3
	v_ashrrev_i32_e32 v4, 31, v3
	v_add_nc_u32_e32 v36, -1, v8
	s_mov_b32 s34, 0
	s_mov_b32 s5, 0
	s_delay_alu instid0(VALU_DEP_2) | instskip(NEXT) | instid1(VALU_DEP_1)
	v_lshlrev_b64 v[4:5], 2, v[3:4]
	v_add_co_u32 v6, vcc_lo, v28, v4
	s_waitcnt vmcnt(0)
	s_delay_alu instid0(VALU_DEP_2)
	v_add_co_ci_u32_e32 v7, vcc_lo, v29, v5, vcc_lo
	v_add_co_u32 v4, vcc_lo, v30, v4
	v_add_co_ci_u32_e32 v5, vcc_lo, v31, v5, vcc_lo
	global_load_b32 v9, v[6:7], off
	global_load_b32 v35, v[4:5], off
	s_branch .LBB0_78
.LBB0_77:                               ;   in Loop: Header=BB0_78 Depth=4
	s_or_b32 exec_lo, exec_lo, s36
	v_cmp_ge_i32_e32 vcc_lo, s35, v36
	s_or_b32 s5, vcc_lo, s5
	s_delay_alu instid0(SALU_CYCLE_1)
	s_and_not1_b32 exec_lo, exec_lo, s5
	s_cbranch_execz .LBB0_74
.LBB0_78:                               ;   Parent Loop BB0_4 Depth=1
                                        ;     Parent Loop BB0_37 Depth=2
                                        ;       Parent Loop BB0_75 Depth=3
                                        ; =>      This Loop Header: Depth=4
                                        ;           Child Loop BB0_83 Depth 5
	v_lshlrev_b32_e32 v37, 4, v3
	v_lshlrev_b32_e32 v38, 10, v10
	s_sext_i32_i8 s35, s34
	s_delay_alu instid0(SALU_CYCLE_1)
	s_lshl_b32 s35, s35, 1
	s_delay_alu instid0(VALU_DEP_1) | instid1(SALU_CYCLE_1)
	v_add3_u32 v4, v38, v37, s35
	s_mov_b32 s35, exec_lo
	ds_load_u16 v4, v4
	s_waitcnt lgkmcnt(0)
	v_bfe_i32 v4, v4, 0, 16
	s_delay_alu instid0(VALU_DEP_1) | instskip(NEXT) | instid1(VALU_DEP_1)
	v_ashrrev_i32_e32 v5, 31, v4
	v_lshlrev_b64 v[5:6], 2, v[4:5]
	s_delay_alu instid0(VALU_DEP_1) | instskip(NEXT) | instid1(VALU_DEP_2)
	v_add_co_u32 v5, vcc_lo, v32, v5
	v_add_co_ci_u32_e32 v6, vcc_lo, v33, v6, vcc_lo
	global_load_u16 v7, v[5:6], off
	s_waitcnt vmcnt(0)
	v_cmpx_eq_u16_e64 v3, v7
	s_cbranch_execz .LBB0_80
; %bb.79:                               ;   in Loop: Header=BB0_78 Depth=4
	global_load_u16 v7, v[5:6], off offset:2
.LBB0_80:                               ;   in Loop: Header=BB0_78 Depth=4
	s_or_b32 exec_lo, exec_lo, s35
	s_and_b32 s34, s34, 0xff
	s_mov_b32 s36, exec_lo
	s_add_i32 s34, s34, 1
	s_delay_alu instid0(SALU_CYCLE_1) | instskip(NEXT) | instid1(SALU_CYCLE_1)
	s_sext_i32_i8 s35, s34
	v_cmpx_lt_i32_e64 s35, v8
	s_cbranch_execz .LBB0_77
; %bb.81:                               ;   in Loop: Header=BB0_78 Depth=4
	s_waitcnt vmcnt(0)
	v_bfe_i32 v5, v7, 0, 16
	v_lshl_add_u32 v43, v4, 2, v15
	s_mov_b32 s37, 0
	s_mov_b32 s38, s34
	s_delay_alu instid0(VALU_DEP_2) | instskip(NEXT) | instid1(VALU_DEP_1)
	v_ashrrev_i32_e32 v6, 31, v5
	v_lshlrev_b64 v[5:6], 2, v[5:6]
	s_delay_alu instid0(VALU_DEP_1) | instskip(NEXT) | instid1(VALU_DEP_2)
	v_add_co_u32 v39, vcc_lo, v28, v5
	v_add_co_ci_u32_e32 v40, vcc_lo, v29, v6, vcc_lo
	v_add_co_u32 v5, vcc_lo, v30, v5
	v_add_co_ci_u32_e32 v6, vcc_lo, v31, v6, vcc_lo
	global_load_b32 v7, v[39:40], off
	global_load_b32 v5, v[5:6], off
	s_waitcnt vmcnt(1)
	v_min_i32_e32 v39, v9, v7
	v_max_i32_e32 v40, v9, v7
	s_waitcnt vmcnt(0)
	v_min_i32_e32 v41, v35, v5
	v_max_i32_e32 v42, v35, v5
	s_branch .LBB0_83
.LBB0_82:                               ;   in Loop: Header=BB0_83 Depth=5
	s_or_b32 exec_lo, exec_lo, s39
	s_and_b32 s38, s38, 0xff
	s_delay_alu instid0(SALU_CYCLE_1) | instskip(NEXT) | instid1(SALU_CYCLE_1)
	s_add_i32 s38, s38, 1
	s_sext_i32_i8 s39, s38
	s_delay_alu instid0(SALU_CYCLE_1) | instskip(SKIP_1) | instid1(SALU_CYCLE_1)
	v_cmp_ge_i32_e32 vcc_lo, s39, v8
	s_or_b32 s37, vcc_lo, s37
	s_and_not1_b32 exec_lo, exec_lo, s37
	s_cbranch_execz .LBB0_77
.LBB0_83:                               ;   Parent Loop BB0_4 Depth=1
                                        ;     Parent Loop BB0_37 Depth=2
                                        ;       Parent Loop BB0_75 Depth=3
                                        ;         Parent Loop BB0_78 Depth=4
                                        ; =>        This Inner Loop Header: Depth=5
	s_sext_i32_i8 s39, s38
	s_delay_alu instid0(SALU_CYCLE_1) | instskip(NEXT) | instid1(SALU_CYCLE_1)
	s_lshl_b32 s39, s39, 1
	v_add3_u32 v5, v38, v37, s39
	s_mov_b32 s39, exec_lo
	ds_load_u16 v5, v5
	s_waitcnt lgkmcnt(0)
	v_bfe_i32 v5, v5, 0, 16
	s_delay_alu instid0(VALU_DEP_1) | instskip(NEXT) | instid1(VALU_DEP_1)
	v_ashrrev_i32_e32 v6, 31, v5
	v_lshlrev_b64 v[6:7], 2, v[5:6]
	s_delay_alu instid0(VALU_DEP_1) | instskip(NEXT) | instid1(VALU_DEP_2)
	v_add_co_u32 v6, vcc_lo, v32, v6
	v_add_co_ci_u32_e32 v7, vcc_lo, v33, v7, vcc_lo
	global_load_u16 v44, v[6:7], off
	s_waitcnt vmcnt(0)
	v_cmpx_eq_u16_e64 v3, v44
	s_cbranch_execz .LBB0_85
; %bb.84:                               ;   in Loop: Header=BB0_83 Depth=5
	global_load_u16 v44, v[6:7], off offset:2
.LBB0_85:                               ;   in Loop: Header=BB0_83 Depth=5
	s_or_b32 exec_lo, exec_lo, s39
	s_waitcnt vmcnt(0)
	v_bfe_i32 v6, v44, 0, 16
	s_mov_b32 s39, exec_lo
	s_delay_alu instid0(VALU_DEP_1) | instskip(NEXT) | instid1(VALU_DEP_1)
	v_ashrrev_i32_e32 v7, 31, v6
	v_lshlrev_b64 v[6:7], 2, v[6:7]
	s_delay_alu instid0(VALU_DEP_1) | instskip(NEXT) | instid1(VALU_DEP_2)
	v_add_co_u32 v44, vcc_lo, v28, v6
	v_add_co_ci_u32_e32 v45, vcc_lo, v29, v7, vcc_lo
	v_add_co_u32 v6, vcc_lo, v30, v6
	v_add_co_ci_u32_e32 v7, vcc_lo, v31, v7, vcc_lo
	global_load_b32 v44, v[44:45], off
	global_load_b32 v6, v[6:7], off
	s_waitcnt vmcnt(1)
	v_minmax_i32 v7, v40, v44, v39
	s_waitcnt vmcnt(0)
	v_minmax_i32 v6, v42, v6, v41
	s_delay_alu instid0(VALU_DEP_2) | instskip(NEXT) | instid1(VALU_DEP_2)
	v_sub_nc_u32_e32 v7, v7, v9
	v_sub_nc_u32_e32 v6, v6, v35
	s_delay_alu instid0(VALU_DEP_2) | instskip(NEXT) | instid1(VALU_DEP_2)
	v_sub_nc_u32_e32 v44, 0, v7
	v_sub_nc_u32_e32 v45, 0, v6
	s_delay_alu instid0(VALU_DEP_2) | instskip(NEXT) | instid1(VALU_DEP_2)
	v_max_i32_e32 v7, v7, v44
	v_max_i32_e32 v6, v6, v45
	s_delay_alu instid0(VALU_DEP_1) | instskip(NEXT) | instid1(VALU_DEP_1)
	v_add_nc_u32_e32 v6, v6, v7
	v_cmpx_ne_u32_e32 0, v6
	s_cbranch_execz .LBB0_82
; %bb.86:                               ;   in Loop: Header=BB0_83 Depth=5
	v_lshlrev_b32_e32 v6, 9, v6
	v_lshl_add_u32 v7, v5, 2, v15
	s_delay_alu instid0(VALU_DEP_2)
	v_add_nc_u32_e32 v5, v6, v5
	v_add_nc_u32_e32 v6, v6, v4
	ds_max_i32 v43, v5
	ds_max_i32 v7, v6
	s_branch .LBB0_82
.LBB0_87:                               ;   in Loop: Header=BB0_37 Depth=2
	s_or_b32 exec_lo, exec_lo, s2
	s_waitcnt vmcnt(0)
	v_dual_mov_b32 v7, v27 :: v_dual_add_nc_u32 v6, -2, v34
	v_mov_b32_e32 v3, v11
	s_mov_b32 s4, 0
                                        ; implicit-def: $sgpr5
                                        ; implicit-def: $vgpr4
                                        ; implicit-def: $vgpr5
	s_branch .LBB0_90
.LBB0_88:                               ;   in Loop: Header=BB0_90 Depth=3
	s_or_b32 exec_lo, exec_lo, s4
	s_bcnt1_i32_b32 s2, vcc_lo
	v_add_nc_u16 v3, v3, 32
	v_add_nc_u16 v7, v27, s2
	s_mov_b32 s2, 0
.LBB0_89:                               ;   in Loop: Header=BB0_90 Depth=3
	s_and_not1_b32 s4, s3, exec_lo
	s_and_b32 s34, s5, exec_lo
	s_and_b32 vcc_lo, exec_lo, s2
	s_or_b32 s4, s4, s34
	s_cbranch_vccnz .LBB0_36
.LBB0_90:                               ;   Parent Loop BB0_4 Depth=1
                                        ;     Parent Loop BB0_37 Depth=2
                                        ; =>    This Inner Loop Header: Depth=3
	s_delay_alu instid0(VALU_DEP_1) | instskip(SKIP_3) | instid1(VALU_DEP_2)
	v_bfe_i32 v3, v3, 0, 16
	v_mov_b32_e32 v27, v7
	s_mov_b32 s3, s4
	s_and_not1_b32 s5, s5, exec_lo
	v_cmp_gt_i32_e64 s2, v6, v3
	s_waitcnt lgkmcnt(0)
	s_delay_alu instid0(VALU_DEP_1) | instskip(SKIP_1) | instid1(VALU_DEP_1)
	v_cndmask_b32_e64 v8, 0, 1, s2
	;;#ASMSTART
	;;#ASMEND
	v_cmp_ne_u32_e32 vcc_lo, 0, v8
	s_cbranch_vccz .LBB0_103
; %bb.91:                               ;   in Loop: Header=BB0_90 Depth=3
	s_mov_b32 s34, 0
	s_mov_b32 s5, s3
	s_and_saveexec_b32 s4, s2
	s_cbranch_execz .LBB0_101
; %bb.92:                               ;   in Loop: Header=BB0_90 Depth=3
	v_lshl_add_u32 v7, v3, 2, v15
	s_mov_b32 s35, s3
	ds_load_b32 v8, v7
	s_waitcnt lgkmcnt(0)
	v_and_b32_e32 v7, 0x1ff, v8
	v_cmp_lt_i32_e32 vcc_lo, 0, v8
	s_delay_alu instid0(VALU_DEP_2) | instskip(NEXT) | instid1(VALU_DEP_1)
	v_cmp_gt_i32_e64 s2, v7, v3
	s_and_b32 s2, vcc_lo, s2
	s_delay_alu instid0(SALU_CYCLE_1)
	s_and_saveexec_b32 s5, s2
	s_cbranch_execz .LBB0_100
; %bb.93:                               ;   in Loop: Header=BB0_90 Depth=3
	v_lshl_add_u32 v8, v7, 2, v15
	s_mov_b32 s2, 0
	s_mov_b32 s35, s3
	s_mov_b32 s34, exec_lo
	ds_load_b32 v8, v8
	s_waitcnt lgkmcnt(0)
	v_ashrrev_i32_e32 v9, 31, v8
	s_delay_alu instid0(VALU_DEP_1) | instskip(NEXT) | instid1(VALU_DEP_1)
	v_lshrrev_b32_e32 v9, 23, v9
	v_add_nc_u32_e32 v9, v8, v9
	s_delay_alu instid0(VALU_DEP_1) | instskip(NEXT) | instid1(VALU_DEP_1)
	v_and_b32_e32 v9, 0xfffffe00, v9
	v_sub_nc_u32_e32 v8, v8, v9
	s_delay_alu instid0(VALU_DEP_1)
	v_cmpx_eq_u32_e64 v8, v3
	s_cbranch_execz .LBB0_99
; %bb.94:                               ;   in Loop: Header=BB0_90 Depth=3
	v_ashrrev_i32_e32 v4, 31, v3
	v_lshlrev_b32_e32 v9, 2, v7
	s_delay_alu instid0(VALU_DEP_2) | instskip(NEXT) | instid1(VALU_DEP_1)
	v_lshlrev_b64 v[4:5], 2, v[3:4]
	v_add_co_u32 v7, vcc_lo, v32, v4
	s_delay_alu instid0(VALU_DEP_2) | instskip(NEXT) | instid1(VALU_DEP_4)
	v_add_co_ci_u32_e32 v8, vcc_lo, v33, v5, vcc_lo
	v_add_co_u32 v4, vcc_lo, v32, v9
	v_add_co_ci_u32_e32 v5, vcc_lo, 0, v33, vcc_lo
	s_clause 0x1
	global_load_b32 v7, v[7:8], off
	global_load_u16 v8, v[4:5], off
	s_waitcnt vmcnt(1)
	v_lshrrev_b32_e32 v9, 16, v7
	v_bfe_i32 v7, v7, 0, 16
	s_waitcnt vmcnt(0)
	v_bfe_i32 v34, v8, 0, 16
	s_delay_alu instid0(VALU_DEP_3) | instskip(NEXT) | instid1(VALU_DEP_3)
	v_bfe_i32 v36, v9, 0, 16
	v_ashrrev_i32_e32 v8, 31, v7
	s_delay_alu instid0(VALU_DEP_3) | instskip(NEXT) | instid1(VALU_DEP_3)
	v_ashrrev_i32_e32 v35, 31, v34
	v_ashrrev_i32_e32 v37, 31, v36
	s_delay_alu instid0(VALU_DEP_3) | instskip(NEXT) | instid1(VALU_DEP_3)
	v_lshlrev_b64 v[7:8], 2, v[7:8]
	v_lshlrev_b64 v[34:35], 2, v[34:35]
	s_delay_alu instid0(VALU_DEP_3) | instskip(NEXT) | instid1(VALU_DEP_3)
	v_lshlrev_b64 v[37:38], 2, v[36:37]
	v_add_co_u32 v39, vcc_lo, v28, v7
	s_delay_alu instid0(VALU_DEP_4)
	v_add_co_ci_u32_e32 v40, vcc_lo, v29, v8, vcc_lo
	v_add_co_u32 v41, vcc_lo, v30, v7
	v_add_co_ci_u32_e32 v42, vcc_lo, v31, v8, vcc_lo
	v_add_co_u32 v43, vcc_lo, v28, v34
	;; [unrolled: 2-line block ×3, first 2 shown]
	v_add_co_ci_u32_e32 v46, vcc_lo, v31, v35, vcc_lo
	global_load_b32 v7, v[39:40], off
	global_load_b32 v8, v[41:42], off
	v_add_co_u32 v39, vcc_lo, v28, v37
	global_load_b32 v35, v[43:44], off
	global_load_b32 v36, v[45:46], off
	v_add_co_ci_u32_e32 v40, vcc_lo, v29, v38, vcc_lo
	v_add_co_u32 v37, vcc_lo, v30, v37
	v_add_co_ci_u32_e32 v38, vcc_lo, v31, v38, vcc_lo
	global_load_b32 v9, v[39:40], off
	global_load_b32 v34, v[37:38], off
	s_waitcnt vmcnt(3)
	v_cmp_eq_u32_e32 vcc_lo, v35, v7
	s_waitcnt vmcnt(2)
	v_cmp_eq_u32_e64 s2, v36, v8
	s_delay_alu instid0(VALU_DEP_1) | instskip(NEXT) | instid1(SALU_CYCLE_1)
	s_and_b32 s35, vcc_lo, s2
	s_xor_b32 s2, s35, -1
	s_delay_alu instid0(SALU_CYCLE_1)
	s_and_saveexec_b32 s36, s2
	s_cbranch_execz .LBB0_96
; %bb.95:                               ;   in Loop: Header=BB0_90 Depth=3
	s_waitcnt vmcnt(1)
	v_cmp_eq_u32_e32 vcc_lo, v35, v9
	s_waitcnt vmcnt(0)
	v_cmp_eq_u32_e64 s2, v36, v34
	s_and_not1_b32 s35, s35, exec_lo
	s_delay_alu instid0(VALU_DEP_1) | instskip(NEXT) | instid1(SALU_CYCLE_1)
	s_and_b32 s2, vcc_lo, s2
	s_and_b32 s2, s2, exec_lo
	s_delay_alu instid0(SALU_CYCLE_1)
	s_or_b32 s35, s35, s2
.LBB0_96:                               ;   in Loop: Header=BB0_90 Depth=3
	s_or_b32 exec_lo, exec_lo, s36
	s_and_saveexec_b32 s2, s35
	s_cbranch_execz .LBB0_98
; %bb.97:                               ;   in Loop: Header=BB0_90 Depth=3
	global_load_u16 v4, v[4:5], off offset:2
	s_waitcnt vmcnt(0)
	v_bfe_i32 v4, v4, 0, 16
	s_delay_alu instid0(VALU_DEP_1) | instskip(NEXT) | instid1(VALU_DEP_1)
	v_ashrrev_i32_e32 v5, 31, v4
	v_lshlrev_b64 v[4:5], 2, v[4:5]
	s_delay_alu instid0(VALU_DEP_1) | instskip(NEXT) | instid1(VALU_DEP_2)
	v_add_co_u32 v35, vcc_lo, v28, v4
	v_add_co_ci_u32_e32 v36, vcc_lo, v29, v5, vcc_lo
	v_add_co_u32 v4, vcc_lo, v30, v4
	v_add_co_ci_u32_e32 v5, vcc_lo, v31, v5, vcc_lo
	global_load_b32 v35, v[35:36], off
	global_load_b32 v36, v[4:5], off
.LBB0_98:                               ;   in Loop: Header=BB0_90 Depth=3
	s_or_b32 exec_lo, exec_lo, s2
	s_waitcnt vmcnt(1)
	v_med3_i32 v4, v7, v9, v35
	s_waitcnt vmcnt(0)
	v_med3_i32 v5, v8, v34, v36
	s_mov_b32 s2, exec_lo
	s_or_b32 s35, s3, exec_lo
.LBB0_99:                               ;   in Loop: Header=BB0_90 Depth=3
	s_or_b32 exec_lo, exec_lo, s34
	s_delay_alu instid0(SALU_CYCLE_1) | instskip(SKIP_1) | instid1(SALU_CYCLE_1)
	s_and_not1_b32 s34, s3, exec_lo
	s_and_b32 s35, s35, exec_lo
	s_or_b32 s35, s34, s35
	s_and_b32 s34, s2, exec_lo
.LBB0_100:                              ;   in Loop: Header=BB0_90 Depth=3
	s_or_b32 exec_lo, exec_lo, s5
	s_delay_alu instid0(SALU_CYCLE_1)
	s_and_not1_b32 s2, s3, exec_lo
	s_and_b32 s5, s35, exec_lo
	s_and_b32 s34, s34, exec_lo
	s_or_b32 s5, s2, s5
.LBB0_101:                              ;   in Loop: Header=BB0_90 Depth=3
	s_or_b32 exec_lo, exec_lo, s4
	v_cndmask_b32_e64 v7, 0, 1, s34
	s_delay_alu instid0(VALU_DEP_1)
	v_cmp_ne_u32_e32 vcc_lo, 0, v7
	s_and_saveexec_b32 s4, s34
	s_cbranch_execz .LBB0_88
; %bb.102:                              ;   in Loop: Header=BB0_90 Depth=3
	v_and_b32_e32 v7, vcc_lo, v16
	v_bfe_i32 v8, v27, 0, 16
	s_delay_alu instid0(VALU_DEP_2) | instskip(NEXT) | instid1(VALU_DEP_2)
	v_bcnt_u32_b32 v7, v7, 0
	v_ashrrev_i32_e32 v9, 31, v8
	s_delay_alu instid0(VALU_DEP_2) | instskip(NEXT) | instid1(VALU_DEP_1)
	v_add_co_u32 v7, s2, v7, v8
	v_add_co_ci_u32_e64 v8, s2, 0, v9, s2
	s_delay_alu instid0(VALU_DEP_1) | instskip(NEXT) | instid1(VALU_DEP_1)
	v_lshlrev_b64 v[7:8], 2, v[7:8]
	v_add_co_u32 v34, s2, v28, v7
	s_delay_alu instid0(VALU_DEP_1) | instskip(SKIP_1) | instid1(VALU_DEP_1)
	v_add_co_ci_u32_e64 v35, s2, v29, v8, s2
	v_add_co_u32 v7, s2, v30, v7
	v_add_co_ci_u32_e64 v8, s2, v31, v8, s2
	global_store_b32 v[34:35], v4, off
	global_store_b32 v[7:8], v5, off
	s_branch .LBB0_88
.LBB0_103:                              ;   in Loop: Header=BB0_90 Depth=3
	s_mov_b32 s2, -1
                                        ; implicit-def: $vgpr3
                                        ; implicit-def: $vgpr5
                                        ; implicit-def: $vgpr4
                                        ; implicit-def: $vgpr7
	s_branch .LBB0_89
.LBB0_104:                              ;   in Loop: Header=BB0_4 Depth=1
	s_or_b32 exec_lo, exec_lo, s33
	s_delay_alu instid0(SALU_CYCLE_1) | instskip(SKIP_2) | instid1(SALU_CYCLE_1)
	s_and_not1_b32 s30, s30, exec_lo
	s_or_b32 exec_lo, exec_lo, s31
	s_and_saveexec_b32 s2, s30
	s_xor_b32 s2, exec_lo, s2
	s_cbranch_execz .LBB0_2
.LBB0_105:                              ;   in Loop: Header=BB0_4 Depth=1
	s_and_saveexec_b32 s3, s0
	s_delay_alu instid0(SALU_CYCLE_1)
	s_xor_b32 s3, exec_lo, s3
	s_cbranch_execz .LBB0_1
; %bb.106:                              ;   in Loop: Header=BB0_4 Depth=1
	v_ashrrev_i32_e32 v3, 31, v2
	s_delay_alu instid0(VALU_DEP_1) | instskip(NEXT) | instid1(VALU_DEP_1)
	v_lshlrev_b64 v[2:3], 2, v[2:3]
	v_add_co_u32 v2, vcc_lo, s12, v2
	s_delay_alu instid0(VALU_DEP_2)
	v_add_co_ci_u32_e32 v3, vcc_lo, s13, v3, vcc_lo
	global_store_b32 v[2:3], v26, off
	s_branch .LBB0_1
.LBB0_107:
	s_or_b32 exec_lo, exec_lo, s27
	v_or_b32_e32 v0, s15, v0
	s_mov_b32 s0, exec_lo
	s_delay_alu instid0(VALU_DEP_1)
	v_cmpx_eq_u32_e32 0, v0
	s_cbranch_execz .LBB0_109
; %bb.108:
	s_ashr_i32 s7, s6, 31
	s_delay_alu instid0(SALU_CYCLE_1) | instskip(NEXT) | instid1(SALU_CYCLE_1)
	s_lshl_b64 s[0:1], s[6:7], 2
	s_add_u32 s2, s22, s0
	s_addc_u32 s3, s23, s1
	s_add_u32 s0, s16, s0
	s_addc_u32 s1, s17, s1
	s_load_b32 s0, s[0:1], 0x0
	s_waitcnt lgkmcnt(0)
	s_lshl_b32 s0, s0, 1
	s_delay_alu instid0(SALU_CYCLE_1)
	v_dual_mov_b32 v0, 0 :: v_dual_mov_b32 v1, s0
	global_store_b32 v0, v1, s[2:3]
.LBB0_109:
	s_nop 0
	s_sendmsg sendmsg(MSG_DEALLOC_VGPRS)
	s_endpgm
	.section	.rodata,"a",@progbits
	.p2align	6, 0x0
	.amdhsa_kernel _ZL14largeNetKernelILi12ELi64EEvPKiS1_S1_PiS2_S2_P4edgeiS2_
		.amdhsa_group_segment_fixed_size 21552
		.amdhsa_private_segment_fixed_size 0
		.amdhsa_kernarg_size 72
		.amdhsa_user_sgpr_count 15
		.amdhsa_user_sgpr_dispatch_ptr 0
		.amdhsa_user_sgpr_queue_ptr 0
		.amdhsa_user_sgpr_kernarg_segment_ptr 1
		.amdhsa_user_sgpr_dispatch_id 0
		.amdhsa_user_sgpr_private_segment_size 0
		.amdhsa_wavefront_size32 1
		.amdhsa_uses_dynamic_stack 0
		.amdhsa_enable_private_segment 0
		.amdhsa_system_sgpr_workgroup_id_x 1
		.amdhsa_system_sgpr_workgroup_id_y 0
		.amdhsa_system_sgpr_workgroup_id_z 0
		.amdhsa_system_sgpr_workgroup_info 0
		.amdhsa_system_vgpr_workitem_id 0
		.amdhsa_next_free_vgpr 47
		.amdhsa_next_free_sgpr 40
		.amdhsa_reserve_vcc 1
		.amdhsa_float_round_mode_32 0
		.amdhsa_float_round_mode_16_64 0
		.amdhsa_float_denorm_mode_32 3
		.amdhsa_float_denorm_mode_16_64 3
		.amdhsa_dx10_clamp 1
		.amdhsa_ieee_mode 1
		.amdhsa_fp16_overflow 0
		.amdhsa_workgroup_processor_mode 1
		.amdhsa_memory_ordered 1
		.amdhsa_forward_progress 0
		.amdhsa_shared_vgpr_count 0
		.amdhsa_exception_fp_ieee_invalid_op 0
		.amdhsa_exception_fp_denorm_src 0
		.amdhsa_exception_fp_ieee_div_zero 0
		.amdhsa_exception_fp_ieee_overflow 0
		.amdhsa_exception_fp_ieee_underflow 0
		.amdhsa_exception_fp_ieee_inexact 0
		.amdhsa_exception_int_div_zero 0
	.end_amdhsa_kernel
	.section	.text._ZL14largeNetKernelILi12ELi64EEvPKiS1_S1_PiS2_S2_P4edgeiS2_,"axG",@progbits,_ZL14largeNetKernelILi12ELi64EEvPKiS1_S1_PiS2_S2_P4edgeiS2_,comdat
.Lfunc_end0:
	.size	_ZL14largeNetKernelILi12ELi64EEvPKiS1_S1_PiS2_S2_P4edgeiS2_, .Lfunc_end0-_ZL14largeNetKernelILi12ELi64EEvPKiS1_S1_PiS2_S2_P4edgeiS2_
                                        ; -- End function
	.section	.AMDGPU.csdata,"",@progbits
; Kernel info:
; codeLenInByte = 5444
; NumSgprs: 42
; NumVgprs: 47
; ScratchSize: 0
; MemoryBound: 0
; FloatMode: 240
; IeeeMode: 1
; LDSByteSize: 21552 bytes/workgroup (compile time only)
; SGPRBlocks: 5
; VGPRBlocks: 5
; NumSGPRsForWavesPerEU: 42
; NumVGPRsForWavesPerEU: 47
; Occupancy: 15
; WaveLimiterHint : 1
; COMPUTE_PGM_RSRC2:SCRATCH_EN: 0
; COMPUTE_PGM_RSRC2:USER_SGPR: 15
; COMPUTE_PGM_RSRC2:TRAP_HANDLER: 0
; COMPUTE_PGM_RSRC2:TGID_X_EN: 1
; COMPUTE_PGM_RSRC2:TGID_Y_EN: 0
; COMPUTE_PGM_RSRC2:TGID_Z_EN: 0
; COMPUTE_PGM_RSRC2:TIDIG_COMP_CNT: 0
	.section	.text._ZL14largeNetKernelILi24ELi64EEvPKiS1_S1_PiS2_S2_P4edgeiS2_,"axG",@progbits,_ZL14largeNetKernelILi24ELi64EEvPKiS1_S1_PiS2_S2_P4edgeiS2_,comdat
	.globl	_ZL14largeNetKernelILi24ELi64EEvPKiS1_S1_PiS2_S2_P4edgeiS2_ ; -- Begin function _ZL14largeNetKernelILi24ELi64EEvPKiS1_S1_PiS2_S2_P4edgeiS2_
	.p2align	8
	.type	_ZL14largeNetKernelILi24ELi64EEvPKiS1_S1_PiS2_S2_P4edgeiS2_,@function
_ZL14largeNetKernelILi24ELi64EEvPKiS1_S1_PiS2_S2_P4edgeiS2_: ; @_ZL14largeNetKernelILi24ELi64EEvPKiS1_S1_PiS2_S2_P4edgeiS2_
; %bb.0:
	s_clause 0x2
	s_load_b256 s[16:23], s[0:1], 0x0
	s_load_b128 s[8:11], s[0:1], 0x20
	s_load_b64 s[12:13], s[0:1], 0x30
	v_dual_mov_b32 v12, 0 :: v_dual_and_b32 v11, 31, v0
	v_lshrrev_b32_e32 v10, 5, v0
	s_clause 0x1
	s_load_b64 s[24:25], s[0:1], 0x40
	s_load_b32 s6, s[0:1], 0x38
	v_mov_b32_e32 v14, 8
	v_lshlrev_b64 v[1:2], v11, -1
	v_cmp_eq_u32_e64 s0, 0, v11
	v_lshlrev_b32_e32 v3, 8, v10
	v_cmp_gt_u32_e64 s1, 3, v11
	v_dual_mov_b32 v13, 4 :: v_dual_mov_b32 v24, -1
	v_not_b32_e32 v16, v1
	v_perm_b32 v1, v11, v11, 0x5040100
	v_lshl_or_b32 v2, v11, 2, v3
	v_or_b32_e32 v15, 0x6000, v3
	v_lshl_or_b32 v17, v10, 2, 0xa800
	v_not_b32_e32 v18, v11
	v_or_b32_e32 v19, 32, v11
	v_or_b32_e32 v20, 0x200000, v1
	s_waitcnt lgkmcnt(0)
	s_add_u32 s7, s8, 12
	v_add_nc_u32_e32 v21, 0x7800, v2
	v_perm_b32 v22, 3, v11, 0x5040100
	v_bfrev_b32_e32 v23, -2
	v_mov_b32_e32 v25, 1
	v_lshl_or_b32 v26, v10, 7, 0x9000
	v_mov_b32_e32 v27, 0x10000
	s_addc_u32 s14, s9, 0
	s_add_u32 s26, s10, 12
	s_addc_u32 s28, s11, 0
	s_mov_b32 s27, 0
                                        ; implicit-def: $vgpr1
	s_branch .LBB1_4
.LBB1_1:                                ;   in Loop: Header=BB1_4 Depth=1
	s_or_b32 exec_lo, exec_lo, s3
.LBB1_2:                                ;   in Loop: Header=BB1_4 Depth=1
	s_delay_alu instid0(SALU_CYCLE_1) | instskip(NEXT) | instid1(SALU_CYCLE_1)
	s_or_b32 exec_lo, exec_lo, s2
	s_xor_b32 s2, exec_lo, -1
.LBB1_3:                                ;   in Loop: Header=BB1_4 Depth=1
	s_or_b32 exec_lo, exec_lo, s29
	s_delay_alu instid0(SALU_CYCLE_1) | instskip(NEXT) | instid1(SALU_CYCLE_1)
	s_and_b32 s2, exec_lo, s2
	s_or_b32 s27, s2, s27
	s_delay_alu instid0(SALU_CYCLE_1)
	s_and_not1_b32 exec_lo, exec_lo, s27
	s_cbranch_execz .LBB1_107
.LBB1_4:                                ; =>This Loop Header: Depth=1
                                        ;     Child Loop BB1_13 Depth 2
                                        ;     Child Loop BB1_15 Depth 2
                                        ;     Child Loop BB1_37 Depth 2
                                        ;       Child Loop BB1_39 Depth 3
                                        ;       Child Loop BB1_43 Depth 3
	;; [unrolled: 1-line block ×4, first 2 shown]
                                        ;         Child Loop BB1_57 Depth 4
                                        ;       Child Loop BB1_63 Depth 3
                                        ;       Child Loop BB1_68 Depth 3
	;; [unrolled: 1-line block ×3, first 2 shown]
                                        ;         Child Loop BB1_78 Depth 4
                                        ;           Child Loop BB1_83 Depth 5
                                        ;       Child Loop BB1_90 Depth 3
	s_and_saveexec_b32 s2, s0
	s_cbranch_execz .LBB1_8
; %bb.5:                                ;   in Loop: Header=BB1_4 Depth=1
	s_mov_b32 s4, exec_lo
	s_mov_b32 s3, exec_lo
	v_mbcnt_lo_u32_b32 v1, s4, 0
                                        ; implicit-def: $vgpr2
	s_delay_alu instid0(VALU_DEP_1)
	v_cmpx_eq_u32_e32 0, v1
	s_cbranch_execz .LBB1_7
; %bb.6:                                ;   in Loop: Header=BB1_4 Depth=1
	s_bcnt1_i32_b32 s29, s4
	s_getpc_b64 s[4:5]
	s_add_u32 s4, s4, _ZL8currpos1@rel32@lo+4
	s_addc_u32 s5, s5, _ZL8currpos1@rel32@hi+12
	v_mov_b32_e32 v2, s29
	global_atomic_add_u32 v2, v12, v2, s[4:5] glc
.LBB1_7:                                ;   in Loop: Header=BB1_4 Depth=1
	s_or_b32 exec_lo, exec_lo, s3
	s_waitcnt vmcnt(0)
	v_readfirstlane_b32 s3, v2
	s_delay_alu instid0(VALU_DEP_1)
	v_add_nc_u32_e32 v1, s3, v1
.LBB1_8:                                ;   in Loop: Header=BB1_4 Depth=1
	s_or_b32 exec_lo, exec_lo, s2
	ds_bpermute_b32 v1, v12, v1
	s_mov_b32 s2, -1
	s_mov_b32 s29, exec_lo
	s_waitcnt lgkmcnt(0)
	v_cmpx_gt_i32_e64 s6, v1
	s_cbranch_execz .LBB1_3
; %bb.9:                                ;   in Loop: Header=BB1_4 Depth=1
	v_ashrrev_i32_e32 v2, 31, v1
	s_delay_alu instid0(VALU_DEP_1) | instskip(NEXT) | instid1(VALU_DEP_1)
	v_lshlrev_b64 v[5:6], 2, v[1:2]
	v_add_co_u32 v2, vcc_lo, s16, v5
	s_delay_alu instid0(VALU_DEP_2)
	v_add_co_ci_u32_e32 v3, vcc_lo, s17, v6, vcc_lo
	global_load_b64 v[3:4], v[2:3], off
	s_waitcnt vmcnt(0)
	v_lshlrev_b32_e32 v2, 1, v3
	s_and_saveexec_b32 s2, s0
	s_cbranch_execz .LBB1_11
; %bb.10:                               ;   in Loop: Header=BB1_4 Depth=1
	v_add_co_u32 v5, vcc_lo, s22, v5
	v_add_co_ci_u32_e32 v6, vcc_lo, s23, v6, vcc_lo
	global_store_b32 v[5:6], v2, off
.LBB1_11:                               ;   in Loop: Header=BB1_4 Depth=1
	s_or_b32 exec_lo, exec_lo, s2
	v_sub_nc_u32_e32 v28, v4, v3
	s_mov_b32 s3, exec_lo
	s_delay_alu instid0(VALU_DEP_1) | instskip(NEXT) | instid1(VALU_DEP_1)
	v_bfe_i32 v4, v28, 0, 16
	v_cmpx_lt_i32_e64 v11, v4
	s_cbranch_execz .LBB1_16
; %bb.12:                               ;   in Loop: Header=BB1_4 Depth=1
	v_mov_b32_e32 v5, v11
	s_mov_b32 s4, 0
	.p2align	6
.LBB1_13:                               ;   Parent Loop BB1_4 Depth=1
                                        ; =>  This Inner Loop Header: Depth=2
	s_delay_alu instid0(VALU_DEP_1) | instskip(SKIP_1) | instid1(VALU_DEP_2)
	v_add_nc_u32_e32 v6, v5, v3
	v_lshl_add_u32 v5, v5, 16, 0x200000
	v_ashrrev_i32_e32 v7, 31, v6
	s_delay_alu instid0(VALU_DEP_2) | instskip(NEXT) | instid1(VALU_DEP_2)
	v_ashrrev_i32_e32 v5, 16, v5
	v_lshlrev_b64 v[7:8], 2, v[6:7]
	v_add_nc_u32_e32 v6, v6, v3
	s_delay_alu instid0(VALU_DEP_2) | instskip(NEXT) | instid1(VALU_DEP_3)
	v_add_co_u32 v7, vcc_lo, s18, v7
	v_add_co_ci_u32_e32 v8, vcc_lo, s19, v8, vcc_lo
	v_cmp_ge_i32_e32 vcc_lo, v5, v4
	global_load_b32 v8, v[7:8], off
	v_ashrrev_i32_e32 v7, 31, v6
	s_or_b32 s4, vcc_lo, s4
	s_delay_alu instid0(VALU_DEP_1) | instskip(NEXT) | instid1(VALU_DEP_1)
	v_lshlrev_b64 v[6:7], 2, v[6:7]
	v_add_co_u32 v6, s2, s8, v6
	s_delay_alu instid0(VALU_DEP_1)
	v_add_co_ci_u32_e64 v7, s2, s9, v7, s2
	s_waitcnt vmcnt(0)
	global_store_b32 v[6:7], v8, off
	s_and_not1_b32 exec_lo, exec_lo, s4
	s_cbranch_execnz .LBB1_13
; %bb.14:                               ;   in Loop: Header=BB1_4 Depth=1
	s_or_b32 exec_lo, exec_lo, s4
	v_mov_b32_e32 v5, v11
	s_mov_b32 s4, 0
	.p2align	6
.LBB1_15:                               ;   Parent Loop BB1_4 Depth=1
                                        ; =>  This Inner Loop Header: Depth=2
	s_delay_alu instid0(VALU_DEP_1) | instskip(SKIP_1) | instid1(VALU_DEP_2)
	v_add_nc_u32_e32 v6, v5, v3
	v_lshl_add_u32 v5, v5, 16, 0x200000
	v_ashrrev_i32_e32 v7, 31, v6
	s_delay_alu instid0(VALU_DEP_2) | instskip(NEXT) | instid1(VALU_DEP_2)
	v_ashrrev_i32_e32 v5, 16, v5
	v_lshlrev_b64 v[7:8], 2, v[6:7]
	v_add_nc_u32_e32 v6, v6, v3
	s_delay_alu instid0(VALU_DEP_2) | instskip(NEXT) | instid1(VALU_DEP_3)
	v_add_co_u32 v7, vcc_lo, s20, v7
	v_add_co_ci_u32_e32 v8, vcc_lo, s21, v8, vcc_lo
	v_cmp_ge_i32_e32 vcc_lo, v5, v4
	global_load_b32 v8, v[7:8], off
	v_ashrrev_i32_e32 v7, 31, v6
	s_or_b32 s4, vcc_lo, s4
	s_delay_alu instid0(VALU_DEP_1) | instskip(NEXT) | instid1(VALU_DEP_1)
	v_lshlrev_b64 v[6:7], 2, v[6:7]
	v_add_co_u32 v6, s2, s10, v6
	s_delay_alu instid0(VALU_DEP_1)
	v_add_co_ci_u32_e64 v7, s2, s11, v7, s2
	s_waitcnt vmcnt(0)
	global_store_b32 v[6:7], v8, off
	s_and_not1_b32 exec_lo, exec_lo, s4
	s_cbranch_execnz .LBB1_15
.LBB1_16:                               ;   in Loop: Header=BB1_4 Depth=1
	s_or_b32 exec_lo, exec_lo, s3
	v_lshlrev_b32_e32 v3, 16, v28
	s_mov_b32 s30, 0
	s_mov_b32 s3, 0
	s_mov_b32 s2, exec_lo
	s_delay_alu instid0(VALU_DEP_1)
	v_cmpx_lt_i32_e32 0x2ffff, v3
	s_xor_b32 s2, exec_lo, s2
	s_cbranch_execnz .LBB1_20
; %bb.17:                               ;   in Loop: Header=BB1_4 Depth=1
	s_and_not1_saveexec_b32 s2, s2
	s_cbranch_execnz .LBB1_27
.LBB1_18:                               ;   in Loop: Header=BB1_4 Depth=1
	s_or_b32 exec_lo, exec_lo, s2
	s_and_saveexec_b32 s2, s3
	s_delay_alu instid0(SALU_CYCLE_1)
	s_xor_b32 s31, exec_lo, s2
	s_cbranch_execnz .LBB1_28
.LBB1_19:                               ;   in Loop: Header=BB1_4 Depth=1
	s_or_b32 exec_lo, exec_lo, s31
	s_and_saveexec_b32 s2, s30
	s_delay_alu instid0(SALU_CYCLE_1)
	s_xor_b32 s2, exec_lo, s2
	s_cbranch_execz .LBB1_2
	s_branch .LBB1_105
.LBB1_20:                               ;   in Loop: Header=BB1_4 Depth=1
	s_mov_b32 s4, -1
	s_mov_b32 s3, exec_lo
	v_cmpx_eq_u32_e32 0x30000, v3
	s_cbranch_execz .LBB1_26
; %bb.21:                               ;   in Loop: Header=BB1_4 Depth=1
                                        ; implicit-def: $vgpr5
                                        ; implicit-def: $vgpr6
	s_and_saveexec_b32 s4, s1
	s_cbranch_execz .LBB1_23
; %bb.22:                               ;   in Loop: Header=BB1_4 Depth=1
	v_add_nc_u32_e32 v5, v2, v11
	s_delay_alu instid0(VALU_DEP_1) | instskip(NEXT) | instid1(VALU_DEP_1)
	v_ashrrev_i32_e32 v6, 31, v5
	v_lshlrev_b64 v[7:8], 2, v[5:6]
	s_delay_alu instid0(VALU_DEP_1) | instskip(NEXT) | instid1(VALU_DEP_2)
	v_add_co_u32 v5, vcc_lo, s8, v7
	v_add_co_ci_u32_e32 v6, vcc_lo, s9, v8, vcc_lo
	v_add_co_u32 v29, vcc_lo, s10, v7
	v_add_co_ci_u32_e32 v30, vcc_lo, s11, v8, vcc_lo
	v_add_co_u32 v7, vcc_lo, s12, v7
	global_load_b32 v6, v[5:6], off
	global_load_b32 v5, v[29:30], off
	v_add_co_ci_u32_e32 v8, vcc_lo, s13, v8, vcc_lo
	global_store_b32 v[7:8], v22, off
.LBB1_23:                               ;   in Loop: Header=BB1_4 Depth=1
	s_or_b32 exec_lo, exec_lo, s4
	s_waitcnt vmcnt(1)
	ds_bpermute_b32 v9, v13, v6
	s_waitcnt vmcnt(0)
	ds_bpermute_b32 v7, v13, v5
	ds_bpermute_b32 v29, v14, v6
	;; [unrolled: 1-line block ×3, first 2 shown]
	s_and_saveexec_b32 s4, s0
	s_delay_alu instid0(SALU_CYCLE_1)
	s_xor_b32 s4, exec_lo, s4
	s_cbranch_execz .LBB1_25
; %bb.24:                               ;   in Loop: Header=BB1_4 Depth=1
	v_ashrrev_i32_e32 v3, 31, v2
	s_delay_alu instid0(VALU_DEP_1) | instskip(SKIP_4) | instid1(VALU_DEP_3)
	v_lshlrev_b64 v[30:31], 2, v[2:3]
	s_waitcnt lgkmcnt(1)
	v_med3_i32 v3, v6, v9, v29
	s_waitcnt lgkmcnt(0)
	v_med3_i32 v9, v5, v7, v8
	v_add_co_u32 v5, vcc_lo, s7, v30
	v_add_co_ci_u32_e32 v6, vcc_lo, s14, v31, vcc_lo
	v_add_co_u32 v7, vcc_lo, s26, v30
	v_add_co_ci_u32_e32 v8, vcc_lo, s28, v31, vcc_lo
	global_store_b32 v[5:6], v3, off
	global_store_b32 v[7:8], v9, off
.LBB1_25:                               ;   in Loop: Header=BB1_4 Depth=1
	s_or_b32 exec_lo, exec_lo, s4
	s_delay_alu instid0(SALU_CYCLE_1)
	s_xor_b32 s4, exec_lo, -1
.LBB1_26:                               ;   in Loop: Header=BB1_4 Depth=1
	s_or_b32 exec_lo, exec_lo, s3
	s_delay_alu instid0(SALU_CYCLE_1)
	s_and_b32 s3, s4, exec_lo
                                        ; implicit-def: $vgpr3
	s_and_not1_saveexec_b32 s2, s2
	s_cbranch_execz .LBB1_18
.LBB1_27:                               ;   in Loop: Header=BB1_4 Depth=1
	v_cmp_ne_u32_e32 vcc_lo, 0x20000, v3
	s_and_not1_b32 s3, s3, exec_lo
	s_mov_b32 s30, exec_lo
	s_and_b32 s4, vcc_lo, exec_lo
	s_delay_alu instid0(SALU_CYCLE_1) | instskip(SKIP_2) | instid1(SALU_CYCLE_1)
	s_or_b32 s3, s3, s4
	s_or_b32 exec_lo, exec_lo, s2
	s_and_saveexec_b32 s2, s3
	s_xor_b32 s31, exec_lo, s2
	s_cbranch_execz .LBB1_19
.LBB1_28:                               ;   in Loop: Header=BB1_4 Depth=1
	s_mov_b32 s2, exec_lo
	v_cmpx_lt_i32_e32 32, v4
	s_xor_b32 s2, exec_lo, s2
	s_cbranch_execz .LBB1_34
; %bb.29:                               ;   in Loop: Header=BB1_4 Depth=1
	s_and_saveexec_b32 s3, s0
	s_cbranch_execz .LBB1_33
; %bb.30:                               ;   in Loop: Header=BB1_4 Depth=1
	s_mov_b32 s5, exec_lo
	s_mov_b32 s4, exec_lo
	v_mbcnt_lo_u32_b32 v3, s5, 0
                                        ; implicit-def: $vgpr4
	s_delay_alu instid0(VALU_DEP_1)
	v_cmpx_eq_u32_e32 0, v3
	s_cbranch_execz .LBB1_32
; %bb.31:                               ;   in Loop: Header=BB1_4 Depth=1
	s_bcnt1_i32_b32 s5, s5
	s_getpc_b64 s[34:35]
	s_add_u32 s34, s34, _ZL6wlsize@rel32@lo+4
	s_addc_u32 s35, s35, _ZL6wlsize@rel32@hi+12
	v_mov_b32_e32 v4, s5
	global_atomic_add_u32 v4, v12, v4, s[34:35] glc
.LBB1_32:                               ;   in Loop: Header=BB1_4 Depth=1
	s_or_b32 exec_lo, exec_lo, s4
	s_waitcnt vmcnt(0)
	v_readfirstlane_b32 s4, v4
	s_delay_alu instid0(VALU_DEP_1) | instskip(NEXT) | instid1(VALU_DEP_1)
	v_add_nc_u32_e32 v3, s4, v3
	v_ashrrev_i32_e32 v4, 31, v3
	s_delay_alu instid0(VALU_DEP_1) | instskip(NEXT) | instid1(VALU_DEP_1)
	v_lshlrev_b64 v[3:4], 2, v[3:4]
	v_add_co_u32 v3, vcc_lo, s24, v3
	s_delay_alu instid0(VALU_DEP_2)
	v_add_co_ci_u32_e32 v4, vcc_lo, s25, v4, vcc_lo
	global_store_b32 v[3:4], v1, off
.LBB1_33:                               ;   in Loop: Header=BB1_4 Depth=1
	s_or_b32 exec_lo, exec_lo, s3
                                        ; implicit-def: $vgpr28
.LBB1_34:                               ;   in Loop: Header=BB1_4 Depth=1
	s_and_not1_saveexec_b32 s33, s2
	s_cbranch_execz .LBB1_104
; %bb.35:                               ;   in Loop: Header=BB1_4 Depth=1
	v_ashrrev_i32_e32 v3, 31, v2
	s_delay_alu instid0(VALU_DEP_1) | instskip(SKIP_1) | instid1(VALU_DEP_1)
	v_lshlrev_b64 v[3:4], 2, v[2:3]
	s_waitcnt lgkmcnt(1)
	v_add_co_u32 v29, vcc_lo, s8, v3
	s_delay_alu instid0(VALU_DEP_2)
	v_add_co_ci_u32_e32 v30, vcc_lo, s9, v4, vcc_lo
	v_add_co_u32 v31, vcc_lo, s10, v3
	v_add_co_ci_u32_e32 v32, vcc_lo, s11, v4, vcc_lo
	v_add_co_u32 v33, vcc_lo, s12, v3
	v_add_co_ci_u32_e32 v34, vcc_lo, s13, v4, vcc_lo
	s_branch .LBB1_37
.LBB1_36:                               ;   in Loop: Header=BB1_37 Depth=2
	v_cndmask_b32_e64 v3, 0, 1, s3
	;;#ASMSTART
	;;#ASMEND
	s_delay_alu instid0(VALU_DEP_1)
	v_cmp_ne_u32_e32 vcc_lo, 0, v3
	s_cbranch_vccz .LBB1_104
.LBB1_37:                               ;   Parent Loop BB1_4 Depth=1
                                        ; =>  This Loop Header: Depth=2
                                        ;       Child Loop BB1_39 Depth 3
                                        ;       Child Loop BB1_43 Depth 3
	;; [unrolled: 1-line block ×4, first 2 shown]
                                        ;         Child Loop BB1_57 Depth 4
                                        ;       Child Loop BB1_63 Depth 3
                                        ;       Child Loop BB1_68 Depth 3
	;; [unrolled: 1-line block ×3, first 2 shown]
                                        ;         Child Loop BB1_78 Depth 4
                                        ;           Child Loop BB1_83 Depth 5
                                        ;       Child Loop BB1_90 Depth 3
	v_bfe_i32 v35, v28, 0, 16
	s_mov_b32 s34, exec_lo
	s_delay_alu instid0(VALU_DEP_1) | instskip(NEXT) | instid1(VALU_DEP_1)
	v_add_nc_u32_e32 v36, -1, v35
	v_bfe_i32 v3, v36, 0, 16
	s_delay_alu instid0(VALU_DEP_1)
	v_cmpx_gt_i32_e64 v3, v11
	s_cbranch_execz .LBB1_49
; %bb.38:                               ;   in Loop: Header=BB1_37 Depth=2
	v_mov_b32_e32 v4, v11
	s_mov_b32 s2, 0
.LBB1_39:                               ;   Parent Loop BB1_4 Depth=1
                                        ;     Parent Loop BB1_37 Depth=2
                                        ; =>    This Inner Loop Header: Depth=3
	s_delay_alu instid0(VALU_DEP_1) | instskip(SKIP_1) | instid1(VALU_DEP_2)
	v_bfe_i32 v5, v4, 0, 16
	v_add_nc_u16 v4, v4, 32
	v_lshl_add_u32 v5, v5, 2, v15
	s_delay_alu instid0(VALU_DEP_2) | instskip(SKIP_3) | instid1(SALU_CYCLE_1)
	v_bfe_i32 v6, v4, 0, 16
	ds_store_b32 v5, v23
	v_cmp_le_i32_e32 vcc_lo, v3, v6
	s_or_b32 s2, vcc_lo, s2
	s_and_not1_b32 exec_lo, exec_lo, s2
	s_cbranch_execnz .LBB1_39
; %bb.40:                               ;   in Loop: Header=BB1_37 Depth=2
	s_or_b32 exec_lo, exec_lo, s2
	v_add_nc_u32_e32 v6, v3, v18
	v_mov_b32_e32 v4, v11
	s_mov_b32 s35, exec_lo
	s_delay_alu instid0(VALU_DEP_2)
	v_cmp_gt_u32_e32 vcc_lo, 0x2e0, v6
	v_cmpx_lt_u32_e32 0x2df, v6
	s_cbranch_execz .LBB1_46
; %bb.41:                               ;   in Loop: Header=BB1_37 Depth=2
	v_lshrrev_b32_e32 v5, 5, v6
	v_cmp_lt_u32_e64 s2, 0x1fffff, v6
	s_delay_alu instid0(VALU_DEP_2) | instskip(SKIP_2) | instid1(VALU_DEP_3)
	v_lshlrev_b16 v4, 5, v5
	v_lshrrev_b16 v7, 10, v5
	v_cmp_lt_u16_e64 s3, 0x7ff, v5
	v_add_nc_u16 v4, v19, v4
	s_delay_alu instid0(VALU_DEP_3) | instskip(NEXT) | instid1(VALU_DEP_3)
	v_and_b32_e32 v7, 1, v7
	s_or_b32 s2, s3, s2
	s_delay_alu instid0(VALU_DEP_2) | instskip(SKIP_1) | instid1(VALU_DEP_3)
	v_cmp_lt_i16_e64 s4, v4, v19
	v_mov_b32_e32 v4, v11
	v_cmp_eq_u32_e64 s5, 1, v7
	s_delay_alu instid0(VALU_DEP_3) | instskip(NEXT) | instid1(VALU_DEP_1)
	s_or_b32 s3, s4, s3
	s_or_b32 s2, s2, s5
	s_delay_alu instid0(SALU_CYCLE_1) | instskip(SKIP_2) | instid1(SALU_CYCLE_1)
	s_or_b32 s3, s3, s2
	s_mov_b32 s2, -1
	s_xor_b32 s4, s3, -1
	s_and_saveexec_b32 s3, s4
	s_cbranch_execz .LBB1_45
; %bb.42:                               ;   in Loop: Header=BB1_37 Depth=2
	v_dual_mov_b32 v7, v20 :: v_dual_add_nc_u32 v4, 1, v5
	s_mov_b32 s4, 0
	s_delay_alu instid0(VALU_DEP_1) | instskip(NEXT) | instid1(VALU_DEP_1)
	v_and_b32_e32 v5, 0xffffffe, v4
	v_mov_b32_e32 v6, v5
	.p2align	6
.LBB1_43:                               ;   Parent Loop BB1_4 Depth=1
                                        ;     Parent Loop BB1_37 Depth=2
                                        ; =>    This Inner Loop Header: Depth=3
	s_delay_alu instid0(VALU_DEP_1)
	v_add_nc_u32_e32 v6, -2, v6
	s_waitcnt lgkmcnt(1)
	v_bfe_i32 v8, v7, 0, 16
	v_ashrrev_i32_e32 v9, 16, v7
	v_pk_add_u16 v37, v7, 1 op_sel_hi:[1,0]
	v_pk_add_u16 v7, v7, 64 op_sel_hi:[1,0]
	v_cmp_eq_u32_e64 s2, 0, v6
	v_lshl_add_u32 v8, v8, 1, v26
	v_lshl_add_u32 v9, v9, 1, v26
	ds_store_b16 v8, v37
	ds_store_b16_d16_hi v9, v37
	s_or_b32 s4, s2, s4
	s_delay_alu instid0(SALU_CYCLE_1)
	s_and_not1_b32 exec_lo, exec_lo, s4
	s_cbranch_execnz .LBB1_43
; %bb.44:                               ;   in Loop: Header=BB1_37 Depth=2
	s_or_b32 exec_lo, exec_lo, s4
	v_lshlrev_b16 v6, 5, v5
	v_cmp_ne_u32_e64 s2, v4, v5
	s_delay_alu instid0(VALU_DEP_2) | instskip(NEXT) | instid1(VALU_DEP_2)
	v_or_b32_e32 v4, v6, v11
	s_or_not1_b32 s2, s2, exec_lo
.LBB1_45:                               ;   in Loop: Header=BB1_37 Depth=2
	s_or_b32 exec_lo, exec_lo, s3
	s_delay_alu instid0(SALU_CYCLE_1) | instskip(SKIP_1) | instid1(SALU_CYCLE_1)
	s_and_not1_b32 s3, vcc_lo, exec_lo
	s_and_b32 s2, s2, exec_lo
	s_or_b32 vcc_lo, s3, s2
.LBB1_46:                               ;   in Loop: Header=BB1_37 Depth=2
	s_or_b32 exec_lo, exec_lo, s35
	s_delay_alu instid0(SALU_CYCLE_1)
	s_and_b32 exec_lo, exec_lo, vcc_lo
	s_cbranch_execz .LBB1_49
; %bb.47:                               ;   in Loop: Header=BB1_37 Depth=2
	s_mov_b32 s2, 0
	.p2align	6
.LBB1_48:                               ;   Parent Loop BB1_4 Depth=1
                                        ;     Parent Loop BB1_37 Depth=2
                                        ; =>    This Inner Loop Header: Depth=3
	v_add_nc_u16 v5, v4, 1
	v_bfe_i32 v6, v4, 0, 16
	v_add_nc_u16 v4, v4, 32
	s_waitcnt lgkmcnt(1)
	v_lshlrev_b32_e32 v8, 7, v10
	s_delay_alu instid0(VALU_DEP_2) | instskip(NEXT) | instid1(VALU_DEP_2)
	v_bfe_i32 v7, v4, 0, 16
	v_lshl_add_u32 v6, v6, 1, v8
	s_delay_alu instid0(VALU_DEP_2) | instskip(SKIP_2) | instid1(SALU_CYCLE_1)
	v_cmp_le_i32_e32 vcc_lo, v3, v7
	ds_store_b16 v6, v5 offset:36864
	s_or_b32 s2, vcc_lo, s2
	s_and_not1_b32 exec_lo, exec_lo, s2
	s_cbranch_execnz .LBB1_48
.LBB1_49:                               ;   in Loop: Header=BB1_37 Depth=2
	s_or_b32 exec_lo, exec_lo, s34
	s_delay_alu instid0(SALU_CYCLE_1)
	s_mov_b32 s2, exec_lo
	v_cmpx_lt_i16_e32 1, v28
	s_cbranch_execz .LBB1_61
; %bb.50:                               ;   in Loop: Header=BB1_37 Depth=2
	v_dual_mov_b32 v4, 0 :: v_dual_mov_b32 v3, v36
	s_mov_b32 s3, 0
	s_mov_b32 s4, 0
	s_branch .LBB1_52
.LBB1_51:                               ;   in Loop: Header=BB1_52 Depth=3
	s_or_b32 exec_lo, exec_lo, s5
	s_and_b32 s4, 0xffff, s4
	s_delay_alu instid0(SALU_CYCLE_1) | instskip(NEXT) | instid1(SALU_CYCLE_1)
	s_add_i32 s4, s4, 1
	s_sext_i32_i16 s5, s4
	s_delay_alu instid0(SALU_CYCLE_1) | instskip(SKIP_1) | instid1(SALU_CYCLE_1)
	v_cmp_ge_i32_e32 vcc_lo, s5, v36
	s_or_b32 s3, vcc_lo, s3
	s_and_not1_b32 exec_lo, exec_lo, s3
	s_cbranch_execz .LBB1_61
.LBB1_52:                               ;   Parent Loop BB1_4 Depth=1
                                        ;     Parent Loop BB1_37 Depth=2
                                        ; =>    This Loop Header: Depth=3
                                        ;         Child Loop BB1_57 Depth 4
	s_and_saveexec_b32 s5, s0
	s_cbranch_execz .LBB1_54
; %bb.53:                               ;   in Loop: Header=BB1_52 Depth=3
	ds_store_b32 v17, v23
.LBB1_54:                               ;   in Loop: Header=BB1_52 Depth=3
	s_or_b32 exec_lo, exec_lo, s5
	s_delay_alu instid0(SALU_CYCLE_1)
	s_mov_b32 s5, exec_lo
	v_cmpx_gt_i16_e64 v3, v11
	s_cbranch_execz .LBB1_59
; %bb.55:                               ;   in Loop: Header=BB1_52 Depth=3
	s_waitcnt lgkmcnt(0)
	v_bfe_i32 v5, v4, 0, 16
	s_mov_b32 s34, 0
	s_delay_alu instid0(VALU_DEP_1) | instskip(NEXT) | instid1(VALU_DEP_1)
	v_ashrrev_i32_e32 v6, 31, v5
	v_lshlrev_b64 v[5:6], 2, v[5:6]
	s_delay_alu instid0(VALU_DEP_1) | instskip(SKIP_1) | instid1(VALU_DEP_2)
	v_add_co_u32 v7, vcc_lo, v29, v5
	s_waitcnt lgkmcnt(0)
	v_add_co_ci_u32_e32 v8, vcc_lo, v30, v6, vcc_lo
	v_add_co_u32 v37, vcc_lo, v31, v5
	v_add_co_ci_u32_e32 v38, vcc_lo, v32, v6, vcc_lo
	global_load_b32 v5, v[7:8], off
	global_load_b32 v6, v[37:38], off
	v_mov_b32_e32 v7, v11
	v_mov_b32_e32 v8, v11
	s_branch .LBB1_57
.LBB1_56:                               ;   in Loop: Header=BB1_57 Depth=4
	s_or_b32 exec_lo, exec_lo, s35
	v_lshl_add_u32 v7, v37, 9, v7
	v_add_nc_u16 v8, v8, 32
	ds_min_i32 v17, v7
	v_cmp_ge_i16_e32 vcc_lo, v8, v3
	v_bfe_i32 v7, v8, 0, 16
	s_or_b32 s34, vcc_lo, s34
	s_delay_alu instid0(SALU_CYCLE_1)
	s_and_not1_b32 exec_lo, exec_lo, s34
	s_cbranch_execz .LBB1_59
.LBB1_57:                               ;   Parent Loop BB1_4 Depth=1
                                        ;     Parent Loop BB1_37 Depth=2
                                        ;       Parent Loop BB1_52 Depth=3
                                        ; =>      This Inner Loop Header: Depth=4
	s_delay_alu instid0(VALU_DEP_1) | instskip(SKIP_2) | instid1(VALU_DEP_1)
	v_bfe_i32 v8, v8, 0, 16
	v_lshlrev_b32_e32 v9, 7, v10
	s_mov_b32 s35, exec_lo
	v_lshl_add_u32 v9, v8, 1, v9
	ds_load_u16 v38, v9 offset:36864
	v_lshl_add_u32 v9, v8, 2, v15
	ds_load_b32 v37, v9
	s_waitcnt lgkmcnt(1)
	v_bfe_i32 v38, v38, 0, 16
	s_delay_alu instid0(VALU_DEP_1) | instskip(NEXT) | instid1(VALU_DEP_1)
	v_ashrrev_i32_e32 v39, 31, v38
	v_lshlrev_b64 v[38:39], 2, v[38:39]
	s_delay_alu instid0(VALU_DEP_1) | instskip(NEXT) | instid1(VALU_DEP_2)
	v_add_co_u32 v40, vcc_lo, v29, v38
	v_add_co_ci_u32_e32 v41, vcc_lo, v30, v39, vcc_lo
	v_add_co_u32 v38, vcc_lo, v31, v38
	v_add_co_ci_u32_e32 v39, vcc_lo, v32, v39, vcc_lo
	global_load_b32 v40, v[40:41], off
	global_load_b32 v38, v[38:39], off
	s_waitcnt vmcnt(1)
	v_sub_nc_u32_e32 v39, v5, v40
	s_waitcnt vmcnt(0)
	v_sub_nc_u32_e32 v38, v6, v38
	s_delay_alu instid0(VALU_DEP_2) | instskip(NEXT) | instid1(VALU_DEP_2)
	v_sub_nc_u32_e32 v40, 0, v39
	v_sub_nc_u32_e32 v41, 0, v38
	s_delay_alu instid0(VALU_DEP_2) | instskip(NEXT) | instid1(VALU_DEP_2)
	v_max_i32_e32 v39, v39, v40
	v_max_i32_e32 v38, v38, v41
	s_delay_alu instid0(VALU_DEP_1) | instskip(SKIP_1) | instid1(VALU_DEP_1)
	v_add_nc_u32_e32 v38, v38, v39
	s_waitcnt lgkmcnt(0)
	v_cmpx_gt_i32_e64 v37, v38
	s_cbranch_execz .LBB1_56
; %bb.58:                               ;   in Loop: Header=BB1_57 Depth=4
	v_lshlrev_b32_e32 v37, 1, v8
	s_delay_alu instid0(VALU_DEP_1)
	v_lshl_add_u32 v39, v10, 7, v37
	v_mov_b32_e32 v37, v38
	ds_store_b32 v9, v38
	ds_store_b16 v39, v4 offset:39936
	s_branch .LBB1_56
.LBB1_59:                               ;   in Loop: Header=BB1_52 Depth=3
	s_or_b32 exec_lo, exec_lo, s5
	s_waitcnt lgkmcnt(0)
	ds_load_b32 v4, v17
	v_lshlrev_b32_e32 v7, 7, v10
	v_add_nc_u16 v3, v3, -1
	s_waitcnt lgkmcnt(0)
	v_ashrrev_i32_e32 v5, 31, v4
	s_delay_alu instid0(VALU_DEP_1) | instskip(NEXT) | instid1(VALU_DEP_1)
	v_lshrrev_b32_e32 v5, 23, v5
	v_add_nc_u32_e32 v5, v4, v5
	s_delay_alu instid0(VALU_DEP_1) | instskip(NEXT) | instid1(VALU_DEP_1)
	v_and_b32_e32 v5, 0xfe00, v5
	v_sub_nc_u32_e32 v4, v4, v5
	s_delay_alu instid0(VALU_DEP_1) | instskip(NEXT) | instid1(VALU_DEP_1)
	v_bfe_i32 v5, v4, 0, 16
	v_lshl_add_u32 v6, v5, 1, v7
	ds_load_u16 v4, v6 offset:36864
	s_and_saveexec_b32 s5, s0
	s_cbranch_execz .LBB1_51
; %bb.60:                               ;   in Loop: Header=BB1_52 Depth=3
	v_bfe_i32 v8, v3, 0, 16
	v_add_nc_u32_e32 v9, 0x9c00, v7
	s_sext_i32_i16 s34, s4
	v_add_nc_u32_e32 v6, 0x9000, v6
	s_ashr_i32 s35, s34, 31
	v_lshlrev_b32_e32 v37, 1, v8
	v_lshl_add_u32 v8, v8, 2, v15
	s_lshl_b64 s[34:35], s[34:35], 2
	s_delay_alu instid0(VALU_DEP_2)
	v_add_nc_u32_e32 v38, v9, v37
	v_lshl_add_u32 v9, v5, 1, v9
	v_add_nc_u32_e32 v7, v37, v7
	v_lshl_add_u32 v5, v5, 2, v15
	ds_load_b32 v37, v8
	ds_load_u16 v38, v38
	ds_load_u16 v39, v9
	s_waitcnt lgkmcnt(1)
	ds_store_b16 v9, v38
	ds_load_u16 v9, v7 offset:36864
	v_add_co_u32 v7, vcc_lo, v33, s34
	v_add_co_ci_u32_e32 v8, vcc_lo, s35, v34, vcc_lo
	s_waitcnt lgkmcnt(2)
	v_perm_b32 v38, v4, v39, 0x5040100
	global_store_b32 v[7:8], v38, off
	ds_store_b32 v5, v37
	s_waitcnt lgkmcnt(1)
	ds_store_b16 v6, v9
	s_branch .LBB1_51
.LBB1_61:                               ;   in Loop: Header=BB1_37 Depth=2
	s_or_b32 exec_lo, exec_lo, s2
	v_cmp_gt_i16_e32 vcc_lo, v28, v11
	s_and_saveexec_b32 s3, vcc_lo
	s_cbranch_execz .LBB1_65
; %bb.62:                               ;   in Loop: Header=BB1_37 Depth=2
	s_waitcnt lgkmcnt(0)
	v_dual_mov_b32 v4, v11 :: v_dual_and_b32 v35, 0xffff, v28
	v_mov_b32_e32 v3, v21
	s_mov_b32 s4, 0
.LBB1_63:                               ;   Parent Loop BB1_4 Depth=1
                                        ;     Parent Loop BB1_37 Depth=2
                                        ; =>    This Inner Loop Header: Depth=3
	s_delay_alu instid0(VALU_DEP_2) | instskip(SKIP_3) | instid1(VALU_DEP_1)
	v_add_nc_u32_e32 v4, 32, v4
	ds_store_b32 v3, v12
	v_add_nc_u32_e32 v3, 0x80, v3
	v_cmp_ge_u32_e64 s2, v4, v35
	s_or_b32 s4, s2, s4
	s_delay_alu instid0(SALU_CYCLE_1)
	s_and_not1_b32 exec_lo, exec_lo, s4
	s_cbranch_execnz .LBB1_63
; %bb.64:                               ;   in Loop: Header=BB1_37 Depth=2
	s_or_b32 exec_lo, exec_lo, s4
	v_add_nc_u32_e32 v36, -1, v35
.LBB1_65:                               ;   in Loop: Header=BB1_37 Depth=2
	s_or_b32 exec_lo, exec_lo, s3
	s_delay_alu instid0(SALU_CYCLE_1) | instskip(NEXT) | instid1(VALU_DEP_1)
	s_mov_b32 s3, exec_lo
	v_cmpx_gt_i32_e64 v36, v11
	s_cbranch_execz .LBB1_72
; %bb.66:                               ;   in Loop: Header=BB1_37 Depth=2
	v_mov_b32_e32 v37, v11
	s_mov_b32 s4, 0
	s_branch .LBB1_68
.LBB1_67:                               ;   in Loop: Header=BB1_68 Depth=3
	s_or_b32 exec_lo, exec_lo, s2
	v_add_nc_u16 v37, v37, 32
	s_delay_alu instid0(VALU_DEP_1) | instskip(NEXT) | instid1(VALU_DEP_1)
	v_bfe_i32 v3, v37, 0, 16
	v_cmp_le_i32_e64 s2, v36, v3
	s_delay_alu instid0(VALU_DEP_1) | instskip(NEXT) | instid1(SALU_CYCLE_1)
	s_or_b32 s4, s2, s4
	s_and_not1_b32 exec_lo, exec_lo, s4
	s_cbranch_execz .LBB1_72
.LBB1_68:                               ;   Parent Loop BB1_4 Depth=1
                                        ;     Parent Loop BB1_37 Depth=2
                                        ; =>    This Inner Loop Header: Depth=3
	s_delay_alu instid0(VALU_DEP_1) | instskip(SKIP_1) | instid1(VALU_DEP_1)
	v_bfe_i32 v38, v37, 0, 16
	s_mov_b32 s34, exec_lo
	v_ashrrev_i32_e32 v39, 31, v38
	s_waitcnt lgkmcnt(0)
	s_delay_alu instid0(VALU_DEP_1) | instskip(SKIP_1) | instid1(VALU_DEP_2)
	v_lshlrev_b64 v[3:4], 2, v[38:39]
	v_lshl_add_u32 v38, v38, 2, v15
	v_add_co_u32 v3, s2, v33, v3
	s_delay_alu instid0(VALU_DEP_1) | instskip(SKIP_4) | instid1(VALU_DEP_2)
	v_add_co_ci_u32_e64 v4, s2, v34, v4, s2
	global_load_b32 v4, v[3:4], off
	s_waitcnt vmcnt(0)
	v_lshrrev_b32_e32 v3, 16, v4
	v_bfe_i32 v5, v4, 0, 16
	v_bfe_i32 v3, v3, 0, 16
	s_delay_alu instid0(VALU_DEP_2) | instskip(NEXT) | instid1(VALU_DEP_2)
	v_ashrrev_i32_e32 v6, 31, v5
	v_ashrrev_i32_e32 v4, 31, v3
	s_delay_alu instid0(VALU_DEP_2) | instskip(NEXT) | instid1(VALU_DEP_2)
	v_lshlrev_b64 v[6:7], 2, v[5:6]
	v_lshlrev_b64 v[8:9], 2, v[3:4]
	s_delay_alu instid0(VALU_DEP_1) | instskip(NEXT) | instid1(VALU_DEP_1)
	v_add_co_u32 v39, s2, v29, v8
	v_add_co_ci_u32_e64 v40, s2, v30, v9, s2
	s_delay_alu instid0(VALU_DEP_4) | instskip(NEXT) | instid1(VALU_DEP_1)
	v_add_co_u32 v41, s2, v29, v6
	v_add_co_ci_u32_e64 v42, s2, v30, v7, s2
	s_clause 0x1
	global_load_b32 v4, v[39:40], off
	global_load_b32 v39, v[41:42], off
	ds_store_b32 v38, v24
	s_waitcnt vmcnt(0)
	v_cmp_ne_u32_e64 s5, v4, v39
	v_cmpx_eq_u32_e64 v4, v39
	s_cbranch_execz .LBB1_70
; %bb.69:                               ;   in Loop: Header=BB1_68 Depth=3
	v_add_co_u32 v8, s2, v31, v8
	s_delay_alu instid0(VALU_DEP_1) | instskip(SKIP_1) | instid1(VALU_DEP_1)
	v_add_co_ci_u32_e64 v9, s2, v32, v9, s2
	v_add_co_u32 v6, s2, v31, v6
	v_add_co_ci_u32_e64 v7, s2, v32, v7, s2
	s_and_not1_b32 s5, s5, exec_lo
	s_clause 0x1
	global_load_b32 v4, v[8:9], off
	global_load_b32 v6, v[6:7], off
	s_waitcnt vmcnt(0)
	v_cmp_ne_u32_e64 s2, v4, v6
	s_delay_alu instid0(VALU_DEP_1) | instskip(NEXT) | instid1(SALU_CYCLE_1)
	s_and_b32 s2, s2, exec_lo
	s_or_b32 s5, s5, s2
.LBB1_70:                               ;   in Loop: Header=BB1_68 Depth=3
	s_or_b32 exec_lo, exec_lo, s34
	s_delay_alu instid0(VALU_DEP_2)
	s_and_saveexec_b32 s2, s5
	s_cbranch_execz .LBB1_67
; %bb.71:                               ;   in Loop: Header=BB1_68 Depth=3
	v_lshl_add_u32 v4, v10, 8, 0x7800
	v_lshlrev_b32_e32 v7, 10, v10
	s_delay_alu instid0(VALU_DEP_2)
	v_lshl_add_u32 v6, v5, 2, v4
	v_lshlrev_b32_e32 v5, 4, v5
	v_lshl_add_u32 v4, v3, 2, v4
	v_lshlrev_b32_e32 v3, 4, v3
	ds_add_rtn_u32 v6, v6, v25
	s_waitcnt lgkmcnt(0)
	v_lshlrev_b32_e32 v6, 1, v6
	s_delay_alu instid0(VALU_DEP_1) | instskip(SKIP_4) | instid1(VALU_DEP_1)
	v_add3_u32 v5, v7, v5, v6
	ds_store_b16 v5, v37
	ds_add_rtn_u32 v4, v4, v25
	s_waitcnt lgkmcnt(0)
	v_lshlrev_b32_e32 v4, 1, v4
	v_add3_u32 v3, v7, v3, v4
	ds_store_b16 v3, v37
	s_branch .LBB1_67
.LBB1_72:                               ;   in Loop: Header=BB1_37 Depth=2
	s_or_b32 exec_lo, exec_lo, s3
	s_and_saveexec_b32 s2, vcc_lo
	s_cbranch_execz .LBB1_87
; %bb.73:                               ;   in Loop: Header=BB1_37 Depth=2
	v_mov_b32_e32 v3, v11
	s_mov_b32 s3, 0
	s_branch .LBB1_75
.LBB1_74:                               ;   in Loop: Header=BB1_75 Depth=3
	s_or_b32 exec_lo, exec_lo, s4
	v_add_nc_u16 v3, v3, 32
	s_delay_alu instid0(VALU_DEP_1) | instskip(SKIP_1) | instid1(SALU_CYCLE_1)
	v_cmp_ge_i16_e32 vcc_lo, v3, v28
	s_or_b32 s3, vcc_lo, s3
	s_and_not1_b32 exec_lo, exec_lo, s3
	s_cbranch_execz .LBB1_87
.LBB1_75:                               ;   Parent Loop BB1_4 Depth=1
                                        ;     Parent Loop BB1_37 Depth=2
                                        ; =>    This Loop Header: Depth=3
                                        ;         Child Loop BB1_78 Depth 4
                                        ;           Child Loop BB1_83 Depth 5
	s_delay_alu instid0(VALU_DEP_1) | instskip(SKIP_2) | instid1(VALU_DEP_1)
	v_bfe_i32 v3, v3, 0, 16
	s_mov_b32 s4, exec_lo
	s_waitcnt lgkmcnt(0)
	v_lshlrev_b32_e32 v4, 2, v3
	s_delay_alu instid0(VALU_DEP_1)
	v_lshl_add_u32 v4, v10, 8, v4
	ds_load_b32 v8, v4 offset:30720
	s_waitcnt lgkmcnt(0)
	v_cmpx_lt_i32_e32 1, v8
	s_cbranch_execz .LBB1_74
; %bb.76:                               ;   in Loop: Header=BB1_75 Depth=3
	v_ashrrev_i32_e32 v4, 31, v3
	v_add_nc_u32_e32 v37, -1, v8
	s_mov_b32 s34, 0
	s_mov_b32 s5, 0
	s_delay_alu instid0(VALU_DEP_2) | instskip(NEXT) | instid1(VALU_DEP_1)
	v_lshlrev_b64 v[4:5], 2, v[3:4]
	v_add_co_u32 v6, vcc_lo, v29, v4
	s_waitcnt vmcnt(0)
	s_delay_alu instid0(VALU_DEP_2)
	v_add_co_ci_u32_e32 v7, vcc_lo, v30, v5, vcc_lo
	v_add_co_u32 v4, vcc_lo, v31, v4
	v_add_co_ci_u32_e32 v5, vcc_lo, v32, v5, vcc_lo
	global_load_b32 v9, v[6:7], off
	global_load_b32 v36, v[4:5], off
	s_branch .LBB1_78
.LBB1_77:                               ;   in Loop: Header=BB1_78 Depth=4
	s_or_b32 exec_lo, exec_lo, s36
	v_cmp_ge_i32_e32 vcc_lo, s35, v37
	s_or_b32 s5, vcc_lo, s5
	s_delay_alu instid0(SALU_CYCLE_1)
	s_and_not1_b32 exec_lo, exec_lo, s5
	s_cbranch_execz .LBB1_74
.LBB1_78:                               ;   Parent Loop BB1_4 Depth=1
                                        ;     Parent Loop BB1_37 Depth=2
                                        ;       Parent Loop BB1_75 Depth=3
                                        ; =>      This Loop Header: Depth=4
                                        ;           Child Loop BB1_83 Depth 5
	v_lshlrev_b32_e32 v38, 4, v3
	v_lshlrev_b32_e32 v39, 10, v10
	s_sext_i32_i8 s35, s34
	s_delay_alu instid0(SALU_CYCLE_1)
	s_lshl_b32 s35, s35, 1
	s_delay_alu instid0(VALU_DEP_1) | instid1(SALU_CYCLE_1)
	v_add3_u32 v4, v39, v38, s35
	s_mov_b32 s35, exec_lo
	ds_load_u16 v4, v4
	s_waitcnt lgkmcnt(0)
	v_bfe_i32 v4, v4, 0, 16
	s_delay_alu instid0(VALU_DEP_1) | instskip(NEXT) | instid1(VALU_DEP_1)
	v_ashrrev_i32_e32 v5, 31, v4
	v_lshlrev_b64 v[5:6], 2, v[4:5]
	s_delay_alu instid0(VALU_DEP_1) | instskip(NEXT) | instid1(VALU_DEP_2)
	v_add_co_u32 v5, vcc_lo, v33, v5
	v_add_co_ci_u32_e32 v6, vcc_lo, v34, v6, vcc_lo
	global_load_u16 v7, v[5:6], off
	s_waitcnt vmcnt(0)
	v_cmpx_eq_u16_e64 v3, v7
	s_cbranch_execz .LBB1_80
; %bb.79:                               ;   in Loop: Header=BB1_78 Depth=4
	global_load_u16 v7, v[5:6], off offset:2
.LBB1_80:                               ;   in Loop: Header=BB1_78 Depth=4
	s_or_b32 exec_lo, exec_lo, s35
	s_and_b32 s34, s34, 0xff
	s_mov_b32 s36, exec_lo
	s_add_i32 s34, s34, 1
	s_delay_alu instid0(SALU_CYCLE_1) | instskip(NEXT) | instid1(SALU_CYCLE_1)
	s_sext_i32_i8 s35, s34
	v_cmpx_lt_i32_e64 s35, v8
	s_cbranch_execz .LBB1_77
; %bb.81:                               ;   in Loop: Header=BB1_78 Depth=4
	s_waitcnt vmcnt(0)
	v_bfe_i32 v5, v7, 0, 16
	v_lshl_add_u32 v44, v4, 2, v15
	s_mov_b32 s37, 0
	s_mov_b32 s38, s34
	s_delay_alu instid0(VALU_DEP_2) | instskip(NEXT) | instid1(VALU_DEP_1)
	v_ashrrev_i32_e32 v6, 31, v5
	v_lshlrev_b64 v[5:6], 2, v[5:6]
	s_delay_alu instid0(VALU_DEP_1) | instskip(NEXT) | instid1(VALU_DEP_2)
	v_add_co_u32 v40, vcc_lo, v29, v5
	v_add_co_ci_u32_e32 v41, vcc_lo, v30, v6, vcc_lo
	v_add_co_u32 v5, vcc_lo, v31, v5
	v_add_co_ci_u32_e32 v6, vcc_lo, v32, v6, vcc_lo
	global_load_b32 v7, v[40:41], off
	global_load_b32 v5, v[5:6], off
	s_waitcnt vmcnt(1)
	v_min_i32_e32 v40, v9, v7
	v_max_i32_e32 v41, v9, v7
	s_waitcnt vmcnt(0)
	v_min_i32_e32 v42, v36, v5
	v_max_i32_e32 v43, v36, v5
	s_branch .LBB1_83
.LBB1_82:                               ;   in Loop: Header=BB1_83 Depth=5
	s_or_b32 exec_lo, exec_lo, s39
	s_and_b32 s38, s38, 0xff
	s_delay_alu instid0(SALU_CYCLE_1) | instskip(NEXT) | instid1(SALU_CYCLE_1)
	s_add_i32 s38, s38, 1
	s_sext_i32_i8 s39, s38
	s_delay_alu instid0(SALU_CYCLE_1) | instskip(SKIP_1) | instid1(SALU_CYCLE_1)
	v_cmp_ge_i32_e32 vcc_lo, s39, v8
	s_or_b32 s37, vcc_lo, s37
	s_and_not1_b32 exec_lo, exec_lo, s37
	s_cbranch_execz .LBB1_77
.LBB1_83:                               ;   Parent Loop BB1_4 Depth=1
                                        ;     Parent Loop BB1_37 Depth=2
                                        ;       Parent Loop BB1_75 Depth=3
                                        ;         Parent Loop BB1_78 Depth=4
                                        ; =>        This Inner Loop Header: Depth=5
	s_sext_i32_i8 s39, s38
	s_delay_alu instid0(SALU_CYCLE_1) | instskip(NEXT) | instid1(SALU_CYCLE_1)
	s_lshl_b32 s39, s39, 1
	v_add3_u32 v5, v39, v38, s39
	s_mov_b32 s39, exec_lo
	ds_load_u16 v5, v5
	s_waitcnt lgkmcnt(0)
	v_bfe_i32 v5, v5, 0, 16
	s_delay_alu instid0(VALU_DEP_1) | instskip(NEXT) | instid1(VALU_DEP_1)
	v_ashrrev_i32_e32 v6, 31, v5
	v_lshlrev_b64 v[6:7], 2, v[5:6]
	s_delay_alu instid0(VALU_DEP_1) | instskip(NEXT) | instid1(VALU_DEP_2)
	v_add_co_u32 v6, vcc_lo, v33, v6
	v_add_co_ci_u32_e32 v7, vcc_lo, v34, v7, vcc_lo
	global_load_u16 v45, v[6:7], off
	s_waitcnt vmcnt(0)
	v_cmpx_eq_u16_e64 v3, v45
	s_cbranch_execz .LBB1_85
; %bb.84:                               ;   in Loop: Header=BB1_83 Depth=5
	global_load_u16 v45, v[6:7], off offset:2
.LBB1_85:                               ;   in Loop: Header=BB1_83 Depth=5
	s_or_b32 exec_lo, exec_lo, s39
	s_waitcnt vmcnt(0)
	v_bfe_i32 v6, v45, 0, 16
	s_mov_b32 s39, exec_lo
	s_delay_alu instid0(VALU_DEP_1) | instskip(NEXT) | instid1(VALU_DEP_1)
	v_ashrrev_i32_e32 v7, 31, v6
	v_lshlrev_b64 v[6:7], 2, v[6:7]
	s_delay_alu instid0(VALU_DEP_1) | instskip(NEXT) | instid1(VALU_DEP_2)
	v_add_co_u32 v45, vcc_lo, v29, v6
	v_add_co_ci_u32_e32 v46, vcc_lo, v30, v7, vcc_lo
	v_add_co_u32 v6, vcc_lo, v31, v6
	v_add_co_ci_u32_e32 v7, vcc_lo, v32, v7, vcc_lo
	global_load_b32 v45, v[45:46], off
	global_load_b32 v6, v[6:7], off
	s_waitcnt vmcnt(1)
	v_minmax_i32 v7, v41, v45, v40
	s_waitcnt vmcnt(0)
	v_minmax_i32 v6, v43, v6, v42
	s_delay_alu instid0(VALU_DEP_2) | instskip(NEXT) | instid1(VALU_DEP_2)
	v_sub_nc_u32_e32 v7, v7, v9
	v_sub_nc_u32_e32 v6, v6, v36
	s_delay_alu instid0(VALU_DEP_2) | instskip(NEXT) | instid1(VALU_DEP_2)
	v_sub_nc_u32_e32 v45, 0, v7
	v_sub_nc_u32_e32 v46, 0, v6
	s_delay_alu instid0(VALU_DEP_2) | instskip(NEXT) | instid1(VALU_DEP_2)
	v_max_i32_e32 v7, v7, v45
	v_max_i32_e32 v6, v6, v46
	s_delay_alu instid0(VALU_DEP_1) | instskip(NEXT) | instid1(VALU_DEP_1)
	v_add_nc_u32_e32 v6, v6, v7
	v_cmpx_ne_u32_e32 0, v6
	s_cbranch_execz .LBB1_82
; %bb.86:                               ;   in Loop: Header=BB1_83 Depth=5
	v_lshlrev_b32_e32 v6, 9, v6
	v_lshl_add_u32 v7, v5, 2, v15
	s_delay_alu instid0(VALU_DEP_2)
	v_add_nc_u32_e32 v5, v6, v5
	v_add_nc_u32_e32 v6, v6, v4
	ds_max_i32 v44, v5
	ds_max_i32 v7, v6
	s_branch .LBB1_82
.LBB1_87:                               ;   in Loop: Header=BB1_37 Depth=2
	s_or_b32 exec_lo, exec_lo, s2
	s_waitcnt vmcnt(0)
	v_dual_mov_b32 v7, v28 :: v_dual_add_nc_u32 v6, -2, v35
	v_mov_b32_e32 v3, v11
	s_mov_b32 s4, 0
                                        ; implicit-def: $sgpr5
                                        ; implicit-def: $vgpr4
                                        ; implicit-def: $vgpr5
	s_branch .LBB1_90
.LBB1_88:                               ;   in Loop: Header=BB1_90 Depth=3
	s_or_b32 exec_lo, exec_lo, s4
	s_bcnt1_i32_b32 s2, vcc_lo
	v_add_nc_u16 v3, v3, 32
	v_add_nc_u16 v7, v28, s2
	s_mov_b32 s2, 0
.LBB1_89:                               ;   in Loop: Header=BB1_90 Depth=3
	s_and_not1_b32 s4, s3, exec_lo
	s_and_b32 s34, s5, exec_lo
	s_and_b32 vcc_lo, exec_lo, s2
	s_or_b32 s4, s4, s34
	s_cbranch_vccnz .LBB1_36
.LBB1_90:                               ;   Parent Loop BB1_4 Depth=1
                                        ;     Parent Loop BB1_37 Depth=2
                                        ; =>    This Inner Loop Header: Depth=3
	s_delay_alu instid0(VALU_DEP_1) | instskip(SKIP_3) | instid1(VALU_DEP_2)
	v_bfe_i32 v3, v3, 0, 16
	v_mov_b32_e32 v28, v7
	s_mov_b32 s3, s4
	s_and_not1_b32 s5, s5, exec_lo
	v_cmp_gt_i32_e64 s2, v6, v3
	s_waitcnt lgkmcnt(0)
	s_delay_alu instid0(VALU_DEP_1) | instskip(SKIP_1) | instid1(VALU_DEP_1)
	v_cndmask_b32_e64 v8, 0, 1, s2
	;;#ASMSTART
	;;#ASMEND
	v_cmp_ne_u32_e32 vcc_lo, 0, v8
	s_cbranch_vccz .LBB1_103
; %bb.91:                               ;   in Loop: Header=BB1_90 Depth=3
	s_mov_b32 s34, 0
	s_mov_b32 s5, s3
	s_and_saveexec_b32 s4, s2
	s_cbranch_execz .LBB1_101
; %bb.92:                               ;   in Loop: Header=BB1_90 Depth=3
	v_lshl_add_u32 v7, v3, 2, v15
	s_mov_b32 s35, s3
	ds_load_b32 v8, v7
	s_waitcnt lgkmcnt(0)
	v_and_b32_e32 v7, 0x1ff, v8
	v_cmp_lt_i32_e32 vcc_lo, 0, v8
	s_delay_alu instid0(VALU_DEP_2) | instskip(NEXT) | instid1(VALU_DEP_1)
	v_cmp_gt_i32_e64 s2, v7, v3
	s_and_b32 s2, vcc_lo, s2
	s_delay_alu instid0(SALU_CYCLE_1)
	s_and_saveexec_b32 s5, s2
	s_cbranch_execz .LBB1_100
; %bb.93:                               ;   in Loop: Header=BB1_90 Depth=3
	v_lshl_add_u32 v8, v7, 2, v15
	s_mov_b32 s2, 0
	s_mov_b32 s35, s3
	s_mov_b32 s34, exec_lo
	ds_load_b32 v8, v8
	s_waitcnt lgkmcnt(0)
	v_ashrrev_i32_e32 v9, 31, v8
	s_delay_alu instid0(VALU_DEP_1) | instskip(NEXT) | instid1(VALU_DEP_1)
	v_lshrrev_b32_e32 v9, 23, v9
	v_add_nc_u32_e32 v9, v8, v9
	s_delay_alu instid0(VALU_DEP_1) | instskip(NEXT) | instid1(VALU_DEP_1)
	v_and_b32_e32 v9, 0xfffffe00, v9
	v_sub_nc_u32_e32 v8, v8, v9
	s_delay_alu instid0(VALU_DEP_1)
	v_cmpx_eq_u32_e64 v8, v3
	s_cbranch_execz .LBB1_99
; %bb.94:                               ;   in Loop: Header=BB1_90 Depth=3
	v_ashrrev_i32_e32 v4, 31, v3
	v_lshlrev_b32_e32 v9, 2, v7
	s_delay_alu instid0(VALU_DEP_2) | instskip(NEXT) | instid1(VALU_DEP_1)
	v_lshlrev_b64 v[4:5], 2, v[3:4]
	v_add_co_u32 v7, vcc_lo, v33, v4
	s_delay_alu instid0(VALU_DEP_2) | instskip(NEXT) | instid1(VALU_DEP_4)
	v_add_co_ci_u32_e32 v8, vcc_lo, v34, v5, vcc_lo
	v_add_co_u32 v4, vcc_lo, v33, v9
	v_add_co_ci_u32_e32 v5, vcc_lo, 0, v34, vcc_lo
	s_clause 0x1
	global_load_b32 v7, v[7:8], off
	global_load_u16 v8, v[4:5], off
	s_waitcnt vmcnt(1)
	v_lshrrev_b32_e32 v9, 16, v7
	v_bfe_i32 v7, v7, 0, 16
	s_waitcnt vmcnt(0)
	v_bfe_i32 v35, v8, 0, 16
	s_delay_alu instid0(VALU_DEP_3) | instskip(NEXT) | instid1(VALU_DEP_3)
	v_bfe_i32 v37, v9, 0, 16
	v_ashrrev_i32_e32 v8, 31, v7
	s_delay_alu instid0(VALU_DEP_3) | instskip(NEXT) | instid1(VALU_DEP_3)
	v_ashrrev_i32_e32 v36, 31, v35
	v_ashrrev_i32_e32 v38, 31, v37
	s_delay_alu instid0(VALU_DEP_3) | instskip(NEXT) | instid1(VALU_DEP_3)
	v_lshlrev_b64 v[7:8], 2, v[7:8]
	v_lshlrev_b64 v[35:36], 2, v[35:36]
	s_delay_alu instid0(VALU_DEP_3) | instskip(NEXT) | instid1(VALU_DEP_3)
	v_lshlrev_b64 v[38:39], 2, v[37:38]
	v_add_co_u32 v40, vcc_lo, v29, v7
	s_delay_alu instid0(VALU_DEP_4)
	v_add_co_ci_u32_e32 v41, vcc_lo, v30, v8, vcc_lo
	v_add_co_u32 v42, vcc_lo, v31, v7
	v_add_co_ci_u32_e32 v43, vcc_lo, v32, v8, vcc_lo
	v_add_co_u32 v44, vcc_lo, v29, v35
	;; [unrolled: 2-line block ×3, first 2 shown]
	v_add_co_ci_u32_e32 v47, vcc_lo, v32, v36, vcc_lo
	global_load_b32 v7, v[40:41], off
	global_load_b32 v8, v[42:43], off
	v_add_co_u32 v40, vcc_lo, v29, v38
	global_load_b32 v36, v[44:45], off
	global_load_b32 v37, v[46:47], off
	v_add_co_ci_u32_e32 v41, vcc_lo, v30, v39, vcc_lo
	v_add_co_u32 v38, vcc_lo, v31, v38
	v_add_co_ci_u32_e32 v39, vcc_lo, v32, v39, vcc_lo
	global_load_b32 v9, v[40:41], off
	global_load_b32 v35, v[38:39], off
	s_waitcnt vmcnt(3)
	v_cmp_eq_u32_e32 vcc_lo, v36, v7
	s_waitcnt vmcnt(2)
	v_cmp_eq_u32_e64 s2, v37, v8
	s_delay_alu instid0(VALU_DEP_1) | instskip(NEXT) | instid1(SALU_CYCLE_1)
	s_and_b32 s35, vcc_lo, s2
	s_xor_b32 s2, s35, -1
	s_delay_alu instid0(SALU_CYCLE_1)
	s_and_saveexec_b32 s36, s2
	s_cbranch_execz .LBB1_96
; %bb.95:                               ;   in Loop: Header=BB1_90 Depth=3
	s_waitcnt vmcnt(1)
	v_cmp_eq_u32_e32 vcc_lo, v36, v9
	s_waitcnt vmcnt(0)
	v_cmp_eq_u32_e64 s2, v37, v35
	s_and_not1_b32 s35, s35, exec_lo
	s_delay_alu instid0(VALU_DEP_1) | instskip(NEXT) | instid1(SALU_CYCLE_1)
	s_and_b32 s2, vcc_lo, s2
	s_and_b32 s2, s2, exec_lo
	s_delay_alu instid0(SALU_CYCLE_1)
	s_or_b32 s35, s35, s2
.LBB1_96:                               ;   in Loop: Header=BB1_90 Depth=3
	s_or_b32 exec_lo, exec_lo, s36
	s_and_saveexec_b32 s2, s35
	s_cbranch_execz .LBB1_98
; %bb.97:                               ;   in Loop: Header=BB1_90 Depth=3
	global_load_u16 v4, v[4:5], off offset:2
	s_waitcnt vmcnt(0)
	v_bfe_i32 v4, v4, 0, 16
	s_delay_alu instid0(VALU_DEP_1) | instskip(NEXT) | instid1(VALU_DEP_1)
	v_ashrrev_i32_e32 v5, 31, v4
	v_lshlrev_b64 v[4:5], 2, v[4:5]
	s_delay_alu instid0(VALU_DEP_1) | instskip(NEXT) | instid1(VALU_DEP_2)
	v_add_co_u32 v36, vcc_lo, v29, v4
	v_add_co_ci_u32_e32 v37, vcc_lo, v30, v5, vcc_lo
	v_add_co_u32 v4, vcc_lo, v31, v4
	v_add_co_ci_u32_e32 v5, vcc_lo, v32, v5, vcc_lo
	global_load_b32 v36, v[36:37], off
	global_load_b32 v37, v[4:5], off
.LBB1_98:                               ;   in Loop: Header=BB1_90 Depth=3
	s_or_b32 exec_lo, exec_lo, s2
	s_waitcnt vmcnt(1)
	v_med3_i32 v4, v7, v9, v36
	s_waitcnt vmcnt(0)
	v_med3_i32 v5, v8, v35, v37
	s_mov_b32 s2, exec_lo
	s_or_b32 s35, s3, exec_lo
.LBB1_99:                               ;   in Loop: Header=BB1_90 Depth=3
	s_or_b32 exec_lo, exec_lo, s34
	s_delay_alu instid0(SALU_CYCLE_1) | instskip(SKIP_1) | instid1(SALU_CYCLE_1)
	s_and_not1_b32 s34, s3, exec_lo
	s_and_b32 s35, s35, exec_lo
	s_or_b32 s35, s34, s35
	s_and_b32 s34, s2, exec_lo
.LBB1_100:                              ;   in Loop: Header=BB1_90 Depth=3
	s_or_b32 exec_lo, exec_lo, s5
	s_delay_alu instid0(SALU_CYCLE_1)
	s_and_not1_b32 s2, s3, exec_lo
	s_and_b32 s5, s35, exec_lo
	s_and_b32 s34, s34, exec_lo
	s_or_b32 s5, s2, s5
.LBB1_101:                              ;   in Loop: Header=BB1_90 Depth=3
	s_or_b32 exec_lo, exec_lo, s4
	v_cndmask_b32_e64 v7, 0, 1, s34
	s_delay_alu instid0(VALU_DEP_1)
	v_cmp_ne_u32_e32 vcc_lo, 0, v7
	s_and_saveexec_b32 s4, s34
	s_cbranch_execz .LBB1_88
; %bb.102:                              ;   in Loop: Header=BB1_90 Depth=3
	v_and_b32_e32 v7, vcc_lo, v16
	v_bfe_i32 v8, v28, 0, 16
	s_delay_alu instid0(VALU_DEP_2) | instskip(NEXT) | instid1(VALU_DEP_2)
	v_bcnt_u32_b32 v7, v7, 0
	v_ashrrev_i32_e32 v9, 31, v8
	s_delay_alu instid0(VALU_DEP_2) | instskip(NEXT) | instid1(VALU_DEP_1)
	v_add_co_u32 v7, s2, v7, v8
	v_add_co_ci_u32_e64 v8, s2, 0, v9, s2
	s_delay_alu instid0(VALU_DEP_1) | instskip(NEXT) | instid1(VALU_DEP_1)
	v_lshlrev_b64 v[7:8], 2, v[7:8]
	v_add_co_u32 v35, s2, v29, v7
	s_delay_alu instid0(VALU_DEP_1) | instskip(SKIP_1) | instid1(VALU_DEP_1)
	v_add_co_ci_u32_e64 v36, s2, v30, v8, s2
	v_add_co_u32 v7, s2, v31, v7
	v_add_co_ci_u32_e64 v8, s2, v32, v8, s2
	global_store_b32 v[35:36], v4, off
	global_store_b32 v[7:8], v5, off
	s_branch .LBB1_88
.LBB1_103:                              ;   in Loop: Header=BB1_90 Depth=3
	s_mov_b32 s2, -1
                                        ; implicit-def: $vgpr3
                                        ; implicit-def: $vgpr5
                                        ; implicit-def: $vgpr4
                                        ; implicit-def: $vgpr7
	s_branch .LBB1_89
.LBB1_104:                              ;   in Loop: Header=BB1_4 Depth=1
	s_or_b32 exec_lo, exec_lo, s33
	s_delay_alu instid0(SALU_CYCLE_1) | instskip(SKIP_2) | instid1(SALU_CYCLE_1)
	s_and_not1_b32 s30, s30, exec_lo
	s_or_b32 exec_lo, exec_lo, s31
	s_and_saveexec_b32 s2, s30
	s_xor_b32 s2, exec_lo, s2
	s_cbranch_execz .LBB1_2
.LBB1_105:                              ;   in Loop: Header=BB1_4 Depth=1
	s_and_saveexec_b32 s3, s0
	s_delay_alu instid0(SALU_CYCLE_1)
	s_xor_b32 s3, exec_lo, s3
	s_cbranch_execz .LBB1_1
; %bb.106:                              ;   in Loop: Header=BB1_4 Depth=1
	v_ashrrev_i32_e32 v3, 31, v2
	s_delay_alu instid0(VALU_DEP_1) | instskip(NEXT) | instid1(VALU_DEP_1)
	v_lshlrev_b64 v[2:3], 2, v[2:3]
	v_add_co_u32 v2, vcc_lo, s12, v2
	s_delay_alu instid0(VALU_DEP_2)
	v_add_co_ci_u32_e32 v3, vcc_lo, s13, v3, vcc_lo
	global_store_b32 v[2:3], v27, off
	s_branch .LBB1_1
.LBB1_107:
	s_or_b32 exec_lo, exec_lo, s27
	v_or_b32_e32 v0, s15, v0
	s_mov_b32 s0, exec_lo
	s_delay_alu instid0(VALU_DEP_1)
	v_cmpx_eq_u32_e32 0, v0
	s_cbranch_execz .LBB1_109
; %bb.108:
	s_ashr_i32 s7, s6, 31
	s_delay_alu instid0(SALU_CYCLE_1) | instskip(NEXT) | instid1(SALU_CYCLE_1)
	s_lshl_b64 s[0:1], s[6:7], 2
	s_add_u32 s2, s22, s0
	s_addc_u32 s3, s23, s1
	s_add_u32 s0, s16, s0
	s_addc_u32 s1, s17, s1
	s_load_b32 s0, s[0:1], 0x0
	s_waitcnt lgkmcnt(0)
	s_lshl_b32 s0, s0, 1
	s_delay_alu instid0(SALU_CYCLE_1)
	v_dual_mov_b32 v0, 0 :: v_dual_mov_b32 v1, s0
	global_store_b32 v0, v1, s[2:3]
.LBB1_109:
	s_nop 0
	s_sendmsg sendmsg(MSG_DEALLOC_VGPRS)
	s_endpgm
	.section	.rodata,"a",@progbits
	.p2align	6, 0x0
	.amdhsa_kernel _ZL14largeNetKernelILi24ELi64EEvPKiS1_S1_PiS2_S2_P4edgeiS2_
		.amdhsa_group_segment_fixed_size 43104
		.amdhsa_private_segment_fixed_size 0
		.amdhsa_kernarg_size 72
		.amdhsa_user_sgpr_count 15
		.amdhsa_user_sgpr_dispatch_ptr 0
		.amdhsa_user_sgpr_queue_ptr 0
		.amdhsa_user_sgpr_kernarg_segment_ptr 1
		.amdhsa_user_sgpr_dispatch_id 0
		.amdhsa_user_sgpr_private_segment_size 0
		.amdhsa_wavefront_size32 1
		.amdhsa_uses_dynamic_stack 0
		.amdhsa_enable_private_segment 0
		.amdhsa_system_sgpr_workgroup_id_x 1
		.amdhsa_system_sgpr_workgroup_id_y 0
		.amdhsa_system_sgpr_workgroup_id_z 0
		.amdhsa_system_sgpr_workgroup_info 0
		.amdhsa_system_vgpr_workitem_id 0
		.amdhsa_next_free_vgpr 48
		.amdhsa_next_free_sgpr 40
		.amdhsa_reserve_vcc 1
		.amdhsa_float_round_mode_32 0
		.amdhsa_float_round_mode_16_64 0
		.amdhsa_float_denorm_mode_32 3
		.amdhsa_float_denorm_mode_16_64 3
		.amdhsa_dx10_clamp 1
		.amdhsa_ieee_mode 1
		.amdhsa_fp16_overflow 0
		.amdhsa_workgroup_processor_mode 1
		.amdhsa_memory_ordered 1
		.amdhsa_forward_progress 0
		.amdhsa_shared_vgpr_count 0
		.amdhsa_exception_fp_ieee_invalid_op 0
		.amdhsa_exception_fp_denorm_src 0
		.amdhsa_exception_fp_ieee_div_zero 0
		.amdhsa_exception_fp_ieee_overflow 0
		.amdhsa_exception_fp_ieee_underflow 0
		.amdhsa_exception_fp_ieee_inexact 0
		.amdhsa_exception_int_div_zero 0
	.end_amdhsa_kernel
	.section	.text._ZL14largeNetKernelILi24ELi64EEvPKiS1_S1_PiS2_S2_P4edgeiS2_,"axG",@progbits,_ZL14largeNetKernelILi24ELi64EEvPKiS1_S1_PiS2_S2_P4edgeiS2_,comdat
.Lfunc_end1:
	.size	_ZL14largeNetKernelILi24ELi64EEvPKiS1_S1_PiS2_S2_P4edgeiS2_, .Lfunc_end1-_ZL14largeNetKernelILi24ELi64EEvPKiS1_S1_PiS2_S2_P4edgeiS2_
                                        ; -- End function
	.section	.AMDGPU.csdata,"",@progbits
; Kernel info:
; codeLenInByte = 5444
; NumSgprs: 42
; NumVgprs: 48
; ScratchSize: 0
; MemoryBound: 0
; FloatMode: 240
; IeeeMode: 1
; LDSByteSize: 43104 bytes/workgroup (compile time only)
; SGPRBlocks: 5
; VGPRBlocks: 5
; NumSGPRsForWavesPerEU: 42
; NumVGPRsForWavesPerEU: 48
; Occupancy: 12
; WaveLimiterHint : 1
; COMPUTE_PGM_RSRC2:SCRATCH_EN: 0
; COMPUTE_PGM_RSRC2:USER_SGPR: 15
; COMPUTE_PGM_RSRC2:TRAP_HANDLER: 0
; COMPUTE_PGM_RSRC2:TGID_X_EN: 1
; COMPUTE_PGM_RSRC2:TGID_Y_EN: 0
; COMPUTE_PGM_RSRC2:TGID_Z_EN: 0
; COMPUTE_PGM_RSRC2:TIDIG_COMP_CNT: 0
	.section	.text._ZL14smallNetKernelILi3ELi512EEvPKiPiS2_P4edgeS2_,"axG",@progbits,_ZL14smallNetKernelILi3ELi512EEvPKiPiS2_P4edgeS2_,comdat
	.globl	_ZL14smallNetKernelILi3ELi512EEvPKiPiS2_P4edgeS2_ ; -- Begin function _ZL14smallNetKernelILi3ELi512EEvPKiPiS2_P4edgeS2_
	.p2align	8
	.type	_ZL14smallNetKernelILi3ELi512EEvPKiPiS2_P4edgeS2_,@function
_ZL14smallNetKernelILi3ELi512EEvPKiPiS2_P4edgeS2_: ; @_ZL14smallNetKernelILi3ELi512EEvPKiPiS2_P4edgeS2_
; %bb.0:
	v_lshrrev_b32_e32 v10, 5, v0
	s_clause 0x1
	s_load_b256 s[8:15], s[0:1], 0x0
	s_load_b64 s[6:7], s[0:1], 0x20
	v_dual_mov_b32 v8, 0 :: v_dual_and_b32 v9, 31, v0
	v_bfrev_b32_e32 v11, -2
	v_lshlrev_b32_e32 v2, 11, v10
	v_dual_mov_b32 v22, -1 :: v_dual_lshlrev_b32 v15, 10, v10
	s_delay_alu instid0(VALU_DEP_4) | instskip(SKIP_1) | instid1(VALU_DEP_4)
	v_lshlrev_b64 v[0:1], v9, -1
	v_perm_b32 v1, v9, v9, 0x5040100
	v_lshl_or_b32 v3, v9, 2, v2
	v_cmp_eq_u32_e64 s0, 0, v9
	v_lshl_or_b32 v12, v10, 2, 0xa800
	v_not_b32_e32 v13, v9
	v_or_b32_e32 v14, 32, v9
	v_or_b32_e32 v16, 0x6000, v2
	;; [unrolled: 1-line block ×3, first 2 shown]
	v_not_b32_e32 v18, v0
	v_dual_mov_b32 v24, 1 :: v_dual_add_nc_u32 v19, 0x7800, v3
	v_lshl_or_b32 v20, v10, 10, 0x9000
	v_add_nc_u32_e32 v21, 0x9c00, v15
	v_lshl_add_u32 v23, v10, 11, 0x7800
	v_lshlrev_b32_e32 v25, 13, v10
	s_mov_b32 s5, 0
                                        ; implicit-def: $vgpr0
	s_branch .LBB2_3
.LBB2_1:                                ;   in Loop: Header=BB2_3 Depth=1
	s_xor_b32 s1, exec_lo, -1
.LBB2_2:                                ;   in Loop: Header=BB2_3 Depth=1
	s_or_b32 exec_lo, exec_lo, s16
	s_delay_alu instid0(SALU_CYCLE_1) | instskip(NEXT) | instid1(SALU_CYCLE_1)
	s_and_b32 s1, exec_lo, s1
	s_or_b32 s5, s1, s5
	s_delay_alu instid0(SALU_CYCLE_1)
	s_and_not1_b32 exec_lo, exec_lo, s5
	s_cbranch_execz .LBB2_77
.LBB2_3:                                ; =>This Loop Header: Depth=1
                                        ;     Child Loop BB2_10 Depth 2
                                        ;       Child Loop BB2_12 Depth 3
                                        ;       Child Loop BB2_16 Depth 3
	;; [unrolled: 1-line block ×4, first 2 shown]
                                        ;         Child Loop BB2_30 Depth 4
                                        ;       Child Loop BB2_36 Depth 3
                                        ;       Child Loop BB2_41 Depth 3
	;; [unrolled: 1-line block ×3, first 2 shown]
                                        ;         Child Loop BB2_51 Depth 4
                                        ;           Child Loop BB2_56 Depth 5
                                        ;       Child Loop BB2_63 Depth 3
	s_and_saveexec_b32 s1, s0
	s_cbranch_execz .LBB2_7
; %bb.4:                                ;   in Loop: Header=BB2_3 Depth=1
	s_mov_b32 s3, exec_lo
	s_mov_b32 s2, exec_lo
	v_mbcnt_lo_u32_b32 v0, s3, 0
                                        ; implicit-def: $vgpr1
	s_delay_alu instid0(VALU_DEP_1)
	v_cmpx_eq_u32_e32 0, v0
	s_cbranch_execz .LBB2_6
; %bb.5:                                ;   in Loop: Header=BB2_3 Depth=1
	s_bcnt1_i32_b32 s3, s3
	s_getpc_b64 s[16:17]
	s_add_u32 s16, s16, _ZL8currpos2@rel32@lo+4
	s_addc_u32 s17, s17, _ZL8currpos2@rel32@hi+12
	v_mov_b32_e32 v1, s3
	global_atomic_add_u32 v1, v8, v1, s[16:17] glc
.LBB2_6:                                ;   in Loop: Header=BB2_3 Depth=1
	s_or_b32 exec_lo, exec_lo, s2
	s_waitcnt vmcnt(0)
	v_readfirstlane_b32 s2, v1
	s_delay_alu instid0(VALU_DEP_1)
	v_add_nc_u32_e32 v0, s2, v0
.LBB2_7:                                ;   in Loop: Header=BB2_3 Depth=1
	s_or_b32 exec_lo, exec_lo, s1
	s_getpc_b64 s[2:3]
	s_add_u32 s2, s2, _ZL6wlsize@rel32@lo+4
	s_addc_u32 s3, s3, _ZL6wlsize@rel32@hi+12
	ds_bpermute_b32 v0, v8, v0
	global_load_b32 v1, v8, s[2:3]
	s_mov_b32 s1, -1
	s_mov_b32 s16, exec_lo
	s_waitcnt vmcnt(0) lgkmcnt(0)
	v_cmpx_lt_i32_e64 v0, v1
	s_cbranch_execz .LBB2_2
; %bb.8:                                ;   in Loop: Header=BB2_3 Depth=1
	v_ashrrev_i32_e32 v1, 31, v0
	s_delay_alu instid0(VALU_DEP_1) | instskip(NEXT) | instid1(VALU_DEP_1)
	v_lshlrev_b64 v[1:2], 2, v[0:1]
	v_add_co_u32 v1, vcc_lo, s6, v1
	s_delay_alu instid0(VALU_DEP_2) | instskip(SKIP_3) | instid1(VALU_DEP_1)
	v_add_co_ci_u32_e32 v2, vcc_lo, s7, v2, vcc_lo
	global_load_b32 v1, v[1:2], off
	s_waitcnt vmcnt(0)
	v_ashrrev_i32_e32 v2, 31, v1
	v_lshlrev_b64 v[1:2], 2, v[1:2]
	s_delay_alu instid0(VALU_DEP_1) | instskip(NEXT) | instid1(VALU_DEP_2)
	v_add_co_u32 v1, vcc_lo, s8, v1
	v_add_co_ci_u32_e32 v2, vcc_lo, s9, v2, vcc_lo
	global_load_b64 v[1:2], v[1:2], off
	s_waitcnt vmcnt(0)
	v_lshlrev_b32_e32 v3, 1, v1
	v_sub_nc_u32_e32 v32, v2, v1
	s_delay_alu instid0(VALU_DEP_2) | instskip(NEXT) | instid1(VALU_DEP_1)
	v_ashrrev_i32_e32 v4, 31, v3
	v_lshlrev_b64 v[3:4], 2, v[3:4]
	s_delay_alu instid0(VALU_DEP_1) | instskip(NEXT) | instid1(VALU_DEP_2)
	v_add_co_u32 v26, vcc_lo, s10, v3
	v_add_co_ci_u32_e32 v27, vcc_lo, s11, v4, vcc_lo
	v_add_co_u32 v28, vcc_lo, s12, v3
	v_add_co_ci_u32_e32 v29, vcc_lo, s13, v4, vcc_lo
	;; [unrolled: 2-line block ×3, first 2 shown]
	s_branch .LBB2_10
.LBB2_9:                                ;   in Loop: Header=BB2_10 Depth=2
	v_cndmask_b32_e64 v1, 0, 1, s2
	;;#ASMSTART
	;;#ASMEND
	s_delay_alu instid0(VALU_DEP_1)
	v_cmp_ne_u32_e32 vcc_lo, 0, v1
	s_cbranch_vccz .LBB2_1
.LBB2_10:                               ;   Parent Loop BB2_3 Depth=1
                                        ; =>  This Loop Header: Depth=2
                                        ;       Child Loop BB2_12 Depth 3
                                        ;       Child Loop BB2_16 Depth 3
	;; [unrolled: 1-line block ×4, first 2 shown]
                                        ;         Child Loop BB2_30 Depth 4
                                        ;       Child Loop BB2_36 Depth 3
                                        ;       Child Loop BB2_41 Depth 3
	;; [unrolled: 1-line block ×3, first 2 shown]
                                        ;         Child Loop BB2_51 Depth 4
                                        ;           Child Loop BB2_56 Depth 5
                                        ;       Child Loop BB2_63 Depth 3
	v_bfe_i32 v33, v32, 0, 16
	s_mov_b32 s17, exec_lo
	s_delay_alu instid0(VALU_DEP_1) | instskip(NEXT) | instid1(VALU_DEP_1)
	v_add_nc_u32_e32 v34, -1, v33
	v_bfe_i32 v1, v34, 0, 16
	s_delay_alu instid0(VALU_DEP_1)
	v_cmpx_gt_i32_e64 v1, v9
	s_cbranch_execz .LBB2_22
; %bb.11:                               ;   in Loop: Header=BB2_10 Depth=2
	s_waitcnt lgkmcnt(0)
	v_mov_b32_e32 v2, v9
	s_mov_b32 s1, 0
.LBB2_12:                               ;   Parent Loop BB2_3 Depth=1
                                        ;     Parent Loop BB2_10 Depth=2
                                        ; =>    This Inner Loop Header: Depth=3
	s_delay_alu instid0(VALU_DEP_1) | instskip(SKIP_1) | instid1(VALU_DEP_2)
	v_bfe_i32 v3, v2, 0, 16
	v_add_nc_u16 v2, v2, 32
	v_lshl_add_u32 v3, v3, 2, v16
	s_delay_alu instid0(VALU_DEP_2) | instskip(SKIP_3) | instid1(SALU_CYCLE_1)
	v_bfe_i32 v4, v2, 0, 16
	ds_store_b32 v3, v11
	v_cmp_le_i32_e32 vcc_lo, v1, v4
	s_or_b32 s1, vcc_lo, s1
	s_and_not1_b32 exec_lo, exec_lo, s1
	s_cbranch_execnz .LBB2_12
; %bb.13:                               ;   in Loop: Header=BB2_10 Depth=2
	s_or_b32 exec_lo, exec_lo, s1
	v_add_nc_u32_e32 v4, v1, v13
	v_mov_b32_e32 v2, v9
	s_mov_b32 s18, exec_lo
	s_delay_alu instid0(VALU_DEP_2)
	v_cmp_gt_u32_e32 vcc_lo, 0x2e0, v4
	v_cmpx_lt_u32_e32 0x2df, v4
	s_cbranch_execz .LBB2_19
; %bb.14:                               ;   in Loop: Header=BB2_10 Depth=2
	v_lshrrev_b32_e32 v3, 5, v4
	v_cmp_lt_u32_e64 s1, 0x1fffff, v4
	s_delay_alu instid0(VALU_DEP_2) | instskip(SKIP_2) | instid1(VALU_DEP_3)
	v_lshlrev_b16 v2, 5, v3
	v_lshrrev_b16 v5, 10, v3
	v_cmp_lt_u16_e64 s2, 0x7ff, v3
	v_add_nc_u16 v2, v14, v2
	s_delay_alu instid0(VALU_DEP_3) | instskip(NEXT) | instid1(VALU_DEP_3)
	v_and_b32_e32 v5, 1, v5
	s_or_b32 s1, s2, s1
	s_delay_alu instid0(VALU_DEP_2) | instskip(SKIP_1) | instid1(VALU_DEP_3)
	v_cmp_lt_i16_e64 s3, v2, v14
	v_mov_b32_e32 v2, v9
	v_cmp_eq_u32_e64 s4, 1, v5
	s_delay_alu instid0(VALU_DEP_3) | instskip(NEXT) | instid1(VALU_DEP_1)
	s_or_b32 s2, s3, s2
	s_or_b32 s1, s1, s4
	s_delay_alu instid0(SALU_CYCLE_1) | instskip(SKIP_2) | instid1(SALU_CYCLE_1)
	s_or_b32 s2, s2, s1
	s_mov_b32 s1, -1
	s_xor_b32 s3, s2, -1
	s_and_saveexec_b32 s2, s3
	s_cbranch_execz .LBB2_18
; %bb.15:                               ;   in Loop: Header=BB2_10 Depth=2
	v_dual_mov_b32 v5, v17 :: v_dual_add_nc_u32 v2, 1, v3
	s_mov_b32 s3, 0
	s_delay_alu instid0(VALU_DEP_1) | instskip(NEXT) | instid1(VALU_DEP_1)
	v_and_b32_e32 v3, 0xffffffe, v2
	v_mov_b32_e32 v4, v3
	.p2align	6
.LBB2_16:                               ;   Parent Loop BB2_3 Depth=1
                                        ;     Parent Loop BB2_10 Depth=2
                                        ; =>    This Inner Loop Header: Depth=3
	s_delay_alu instid0(VALU_DEP_1)
	v_add_nc_u32_e32 v4, -2, v4
	v_bfe_i32 v6, v5, 0, 16
	v_ashrrev_i32_e32 v7, 16, v5
	v_pk_add_u16 v35, v5, 1 op_sel_hi:[1,0]
	v_pk_add_u16 v5, v5, 64 op_sel_hi:[1,0]
	v_cmp_eq_u32_e64 s1, 0, v4
	v_lshl_add_u32 v6, v6, 1, v20
	v_lshl_add_u32 v7, v7, 1, v20
	ds_store_b16 v6, v35
	ds_store_b16_d16_hi v7, v35
	s_or_b32 s3, s1, s3
	s_delay_alu instid0(SALU_CYCLE_1)
	s_and_not1_b32 exec_lo, exec_lo, s3
	s_cbranch_execnz .LBB2_16
; %bb.17:                               ;   in Loop: Header=BB2_10 Depth=2
	s_or_b32 exec_lo, exec_lo, s3
	v_lshlrev_b16 v4, 5, v3
	v_cmp_ne_u32_e64 s1, v2, v3
	s_delay_alu instid0(VALU_DEP_2) | instskip(NEXT) | instid1(VALU_DEP_2)
	v_or_b32_e32 v2, v4, v9
	s_or_not1_b32 s1, s1, exec_lo
.LBB2_18:                               ;   in Loop: Header=BB2_10 Depth=2
	s_or_b32 exec_lo, exec_lo, s2
	s_delay_alu instid0(SALU_CYCLE_1) | instskip(SKIP_1) | instid1(SALU_CYCLE_1)
	s_and_not1_b32 s2, vcc_lo, exec_lo
	s_and_b32 s1, s1, exec_lo
	s_or_b32 vcc_lo, s2, s1
.LBB2_19:                               ;   in Loop: Header=BB2_10 Depth=2
	s_or_b32 exec_lo, exec_lo, s18
	s_delay_alu instid0(SALU_CYCLE_1)
	s_and_b32 exec_lo, exec_lo, vcc_lo
	s_cbranch_execz .LBB2_22
; %bb.20:                               ;   in Loop: Header=BB2_10 Depth=2
	s_mov_b32 s1, 0
.LBB2_21:                               ;   Parent Loop BB2_3 Depth=1
                                        ;     Parent Loop BB2_10 Depth=2
                                        ; =>    This Inner Loop Header: Depth=3
	v_add_nc_u16 v3, v2, 1
	v_bfe_i32 v4, v2, 0, 16
	v_add_nc_u16 v2, v2, 32
	s_delay_alu instid0(VALU_DEP_2) | instskip(NEXT) | instid1(VALU_DEP_2)
	v_lshl_add_u32 v4, v4, 1, v15
	v_bfe_i32 v5, v2, 0, 16
	ds_store_b16 v4, v3 offset:36864
	v_cmp_le_i32_e32 vcc_lo, v1, v5
	s_or_b32 s1, vcc_lo, s1
	s_delay_alu instid0(SALU_CYCLE_1)
	s_and_not1_b32 exec_lo, exec_lo, s1
	s_cbranch_execnz .LBB2_21
.LBB2_22:                               ;   in Loop: Header=BB2_10 Depth=2
	s_or_b32 exec_lo, exec_lo, s17
	s_delay_alu instid0(SALU_CYCLE_1)
	s_mov_b32 s1, exec_lo
	v_cmpx_lt_i16_e32 1, v32
	s_cbranch_execz .LBB2_34
; %bb.23:                               ;   in Loop: Header=BB2_10 Depth=2
	s_waitcnt lgkmcnt(0)
	v_dual_mov_b32 v2, 0 :: v_dual_mov_b32 v1, v34
	s_mov_b32 s2, 0
	s_mov_b32 s3, 0
	s_branch .LBB2_25
.LBB2_24:                               ;   in Loop: Header=BB2_25 Depth=3
	s_or_b32 exec_lo, exec_lo, s4
	s_and_b32 s3, 0xffff, s3
	s_delay_alu instid0(SALU_CYCLE_1) | instskip(NEXT) | instid1(SALU_CYCLE_1)
	s_add_i32 s3, s3, 1
	s_sext_i32_i16 s4, s3
	s_delay_alu instid0(SALU_CYCLE_1) | instskip(SKIP_1) | instid1(SALU_CYCLE_1)
	v_cmp_ge_i32_e32 vcc_lo, s4, v34
	s_or_b32 s2, vcc_lo, s2
	s_and_not1_b32 exec_lo, exec_lo, s2
	s_cbranch_execz .LBB2_34
.LBB2_25:                               ;   Parent Loop BB2_3 Depth=1
                                        ;     Parent Loop BB2_10 Depth=2
                                        ; =>    This Loop Header: Depth=3
                                        ;         Child Loop BB2_30 Depth 4
	s_and_saveexec_b32 s4, s0
	s_cbranch_execz .LBB2_27
; %bb.26:                               ;   in Loop: Header=BB2_25 Depth=3
	ds_store_b32 v12, v11
.LBB2_27:                               ;   in Loop: Header=BB2_25 Depth=3
	s_or_b32 exec_lo, exec_lo, s4
	s_delay_alu instid0(SALU_CYCLE_1)
	s_mov_b32 s4, exec_lo
	v_cmpx_gt_i16_e64 v1, v9
	s_cbranch_execz .LBB2_32
; %bb.28:                               ;   in Loop: Header=BB2_25 Depth=3
	s_waitcnt lgkmcnt(0)
	v_bfe_i32 v3, v2, 0, 16
	s_mov_b32 s17, 0
	s_delay_alu instid0(VALU_DEP_1) | instskip(NEXT) | instid1(VALU_DEP_1)
	v_ashrrev_i32_e32 v4, 31, v3
	v_lshlrev_b64 v[3:4], 2, v[3:4]
	s_delay_alu instid0(VALU_DEP_1) | instskip(NEXT) | instid1(VALU_DEP_2)
	v_add_co_u32 v5, vcc_lo, v26, v3
	v_add_co_ci_u32_e32 v6, vcc_lo, v27, v4, vcc_lo
	v_add_co_u32 v35, vcc_lo, v28, v3
	v_add_co_ci_u32_e32 v36, vcc_lo, v29, v4, vcc_lo
	global_load_b32 v3, v[5:6], off
	global_load_b32 v4, v[35:36], off
	v_mov_b32_e32 v5, v9
	v_mov_b32_e32 v6, v9
	s_branch .LBB2_30
.LBB2_29:                               ;   in Loop: Header=BB2_30 Depth=4
	s_or_b32 exec_lo, exec_lo, s18
	v_lshl_add_u32 v5, v35, 9, v5
	v_add_nc_u16 v6, v6, 32
	ds_min_i32 v12, v5
	v_cmp_ge_i16_e32 vcc_lo, v6, v1
	v_bfe_i32 v5, v6, 0, 16
	s_or_b32 s17, vcc_lo, s17
	s_delay_alu instid0(SALU_CYCLE_1)
	s_and_not1_b32 exec_lo, exec_lo, s17
	s_cbranch_execz .LBB2_32
.LBB2_30:                               ;   Parent Loop BB2_3 Depth=1
                                        ;     Parent Loop BB2_10 Depth=2
                                        ;       Parent Loop BB2_25 Depth=3
                                        ; =>      This Inner Loop Header: Depth=4
	s_delay_alu instid0(VALU_DEP_1) | instskip(SKIP_1) | instid1(VALU_DEP_1)
	v_bfe_i32 v6, v6, 0, 16
	s_mov_b32 s18, exec_lo
	v_lshl_add_u32 v7, v6, 1, v15
	ds_load_u16 v36, v7 offset:36864
	v_lshl_add_u32 v7, v6, 2, v16
	ds_load_b32 v35, v7
	s_waitcnt lgkmcnt(1)
	v_bfe_i32 v36, v36, 0, 16
	s_delay_alu instid0(VALU_DEP_1) | instskip(NEXT) | instid1(VALU_DEP_1)
	v_ashrrev_i32_e32 v37, 31, v36
	v_lshlrev_b64 v[36:37], 2, v[36:37]
	s_delay_alu instid0(VALU_DEP_1) | instskip(NEXT) | instid1(VALU_DEP_2)
	v_add_co_u32 v38, vcc_lo, v26, v36
	v_add_co_ci_u32_e32 v39, vcc_lo, v27, v37, vcc_lo
	v_add_co_u32 v36, vcc_lo, v28, v36
	v_add_co_ci_u32_e32 v37, vcc_lo, v29, v37, vcc_lo
	global_load_b32 v38, v[38:39], off
	global_load_b32 v36, v[36:37], off
	s_waitcnt vmcnt(1)
	v_sub_nc_u32_e32 v37, v3, v38
	s_waitcnt vmcnt(0)
	v_sub_nc_u32_e32 v36, v4, v36
	s_delay_alu instid0(VALU_DEP_2) | instskip(NEXT) | instid1(VALU_DEP_2)
	v_sub_nc_u32_e32 v38, 0, v37
	v_sub_nc_u32_e32 v39, 0, v36
	s_delay_alu instid0(VALU_DEP_2) | instskip(NEXT) | instid1(VALU_DEP_2)
	v_max_i32_e32 v37, v37, v38
	v_max_i32_e32 v36, v36, v39
	s_delay_alu instid0(VALU_DEP_1) | instskip(SKIP_1) | instid1(VALU_DEP_1)
	v_add_nc_u32_e32 v36, v36, v37
	s_waitcnt lgkmcnt(0)
	v_cmpx_gt_i32_e64 v35, v36
	s_cbranch_execz .LBB2_29
; %bb.31:                               ;   in Loop: Header=BB2_30 Depth=4
	v_lshlrev_b32_e32 v35, 1, v6
	s_delay_alu instid0(VALU_DEP_1)
	v_lshl_add_u32 v37, v10, 10, v35
	v_mov_b32_e32 v35, v36
	ds_store_b32 v7, v36
	ds_store_b16 v37, v2 offset:39936
	s_branch .LBB2_29
.LBB2_32:                               ;   in Loop: Header=BB2_25 Depth=3
	s_or_b32 exec_lo, exec_lo, s4
	s_waitcnt lgkmcnt(0)
	ds_load_b32 v2, v12
	v_add_nc_u16 v1, v1, -1
	s_waitcnt lgkmcnt(0)
	v_ashrrev_i32_e32 v3, 31, v2
	s_delay_alu instid0(VALU_DEP_1) | instskip(NEXT) | instid1(VALU_DEP_1)
	v_lshrrev_b32_e32 v3, 23, v3
	v_add_nc_u32_e32 v3, v2, v3
	s_delay_alu instid0(VALU_DEP_1) | instskip(NEXT) | instid1(VALU_DEP_1)
	v_and_b32_e32 v3, 0xfe00, v3
	v_sub_nc_u32_e32 v2, v2, v3
	s_delay_alu instid0(VALU_DEP_1) | instskip(NEXT) | instid1(VALU_DEP_1)
	v_bfe_i32 v3, v2, 0, 16
	v_lshl_add_u32 v4, v3, 1, v15
	ds_load_u16 v2, v4 offset:36864
	s_and_saveexec_b32 s4, s0
	s_cbranch_execz .LBB2_24
; %bb.33:                               ;   in Loop: Header=BB2_25 Depth=3
	v_bfe_i32 v5, v1, 0, 16
	v_lshl_add_u32 v35, v3, 1, v21
	s_sext_i32_i16 s18, s3
	v_lshl_add_u32 v3, v3, 2, v16
	s_ashr_i32 s19, s18, 31
	v_lshlrev_b32_e32 v6, 1, v5
	v_lshl_add_u32 v5, v5, 2, v16
	s_lshl_b64 s[18:19], s[18:19], 2
	v_add_nc_u32_e32 v4, 0x9000, v4
	ds_load_u16 v36, v35
	v_add_nc_u32_e32 v7, v21, v6
	v_add_nc_u32_e32 v6, v6, v15
	ds_load_b32 v37, v5
	ds_load_u16 v7, v7
	s_waitcnt lgkmcnt(0)
	ds_store_b16 v35, v7
	ds_load_u16 v7, v6 offset:36864
	v_add_co_u32 v5, vcc_lo, v30, s18
	v_add_co_ci_u32_e32 v6, vcc_lo, s19, v31, vcc_lo
	v_perm_b32 v35, v2, v36, 0x5040100
	global_store_b32 v[5:6], v35, off
	ds_store_b32 v3, v37
	s_waitcnt lgkmcnt(1)
	ds_store_b16 v4, v7
	s_branch .LBB2_24
.LBB2_34:                               ;   in Loop: Header=BB2_10 Depth=2
	s_or_b32 exec_lo, exec_lo, s1
	v_cmp_gt_i16_e32 vcc_lo, v32, v9
	s_and_saveexec_b32 s2, vcc_lo
	s_cbranch_execz .LBB2_38
; %bb.35:                               ;   in Loop: Header=BB2_10 Depth=2
	s_waitcnt lgkmcnt(0)
	v_dual_mov_b32 v2, v9 :: v_dual_and_b32 v33, 0xffff, v32
	v_mov_b32_e32 v1, v19
	s_mov_b32 s3, 0
.LBB2_36:                               ;   Parent Loop BB2_3 Depth=1
                                        ;     Parent Loop BB2_10 Depth=2
                                        ; =>    This Inner Loop Header: Depth=3
	s_delay_alu instid0(VALU_DEP_2) | instskip(SKIP_3) | instid1(VALU_DEP_1)
	v_add_nc_u32_e32 v2, 32, v2
	ds_store_b32 v1, v8
	v_add_nc_u32_e32 v1, 0x80, v1
	v_cmp_ge_u32_e64 s1, v2, v33
	s_or_b32 s3, s1, s3
	s_delay_alu instid0(SALU_CYCLE_1)
	s_and_not1_b32 exec_lo, exec_lo, s3
	s_cbranch_execnz .LBB2_36
; %bb.37:                               ;   in Loop: Header=BB2_10 Depth=2
	s_or_b32 exec_lo, exec_lo, s3
	v_add_nc_u32_e32 v34, -1, v33
.LBB2_38:                               ;   in Loop: Header=BB2_10 Depth=2
	s_or_b32 exec_lo, exec_lo, s2
	s_delay_alu instid0(SALU_CYCLE_1) | instskip(NEXT) | instid1(VALU_DEP_1)
	s_mov_b32 s2, exec_lo
	v_cmpx_gt_i32_e64 v34, v9
	s_cbranch_execz .LBB2_45
; %bb.39:                               ;   in Loop: Header=BB2_10 Depth=2
	v_mov_b32_e32 v35, v9
	s_mov_b32 s3, 0
	s_branch .LBB2_41
.LBB2_40:                               ;   in Loop: Header=BB2_41 Depth=3
	s_or_b32 exec_lo, exec_lo, s1
	v_add_nc_u16 v35, v35, 32
	s_delay_alu instid0(VALU_DEP_1) | instskip(NEXT) | instid1(VALU_DEP_1)
	v_bfe_i32 v1, v35, 0, 16
	v_cmp_le_i32_e64 s1, v34, v1
	s_delay_alu instid0(VALU_DEP_1) | instskip(NEXT) | instid1(SALU_CYCLE_1)
	s_or_b32 s3, s1, s3
	s_and_not1_b32 exec_lo, exec_lo, s3
	s_cbranch_execz .LBB2_45
.LBB2_41:                               ;   Parent Loop BB2_3 Depth=1
                                        ;     Parent Loop BB2_10 Depth=2
                                        ; =>    This Inner Loop Header: Depth=3
	s_delay_alu instid0(VALU_DEP_1) | instskip(SKIP_1) | instid1(VALU_DEP_1)
	v_bfe_i32 v36, v35, 0, 16
	s_mov_b32 s17, exec_lo
	v_ashrrev_i32_e32 v37, 31, v36
	s_waitcnt lgkmcnt(0)
	s_delay_alu instid0(VALU_DEP_1) | instskip(SKIP_1) | instid1(VALU_DEP_2)
	v_lshlrev_b64 v[1:2], 2, v[36:37]
	v_lshl_add_u32 v36, v36, 2, v16
	v_add_co_u32 v1, s1, v30, v1
	s_delay_alu instid0(VALU_DEP_1) | instskip(SKIP_4) | instid1(VALU_DEP_2)
	v_add_co_ci_u32_e64 v2, s1, v31, v2, s1
	global_load_b32 v2, v[1:2], off
	s_waitcnt vmcnt(0)
	v_lshrrev_b32_e32 v1, 16, v2
	v_bfe_i32 v3, v2, 0, 16
	v_bfe_i32 v1, v1, 0, 16
	s_delay_alu instid0(VALU_DEP_2) | instskip(NEXT) | instid1(VALU_DEP_2)
	v_ashrrev_i32_e32 v4, 31, v3
	v_ashrrev_i32_e32 v2, 31, v1
	s_delay_alu instid0(VALU_DEP_2) | instskip(NEXT) | instid1(VALU_DEP_2)
	v_lshlrev_b64 v[4:5], 2, v[3:4]
	v_lshlrev_b64 v[6:7], 2, v[1:2]
	s_delay_alu instid0(VALU_DEP_1) | instskip(NEXT) | instid1(VALU_DEP_1)
	v_add_co_u32 v37, s1, v26, v6
	v_add_co_ci_u32_e64 v38, s1, v27, v7, s1
	s_delay_alu instid0(VALU_DEP_4) | instskip(NEXT) | instid1(VALU_DEP_1)
	v_add_co_u32 v39, s1, v26, v4
	v_add_co_ci_u32_e64 v40, s1, v27, v5, s1
	s_clause 0x1
	global_load_b32 v2, v[37:38], off
	global_load_b32 v37, v[39:40], off
	ds_store_b32 v36, v22
	s_waitcnt vmcnt(0)
	v_cmp_ne_u32_e64 s4, v2, v37
	v_cmpx_eq_u32_e64 v2, v37
	s_cbranch_execz .LBB2_43
; %bb.42:                               ;   in Loop: Header=BB2_41 Depth=3
	v_add_co_u32 v6, s1, v28, v6
	s_delay_alu instid0(VALU_DEP_1) | instskip(SKIP_1) | instid1(VALU_DEP_1)
	v_add_co_ci_u32_e64 v7, s1, v29, v7, s1
	v_add_co_u32 v4, s1, v28, v4
	v_add_co_ci_u32_e64 v5, s1, v29, v5, s1
	s_and_not1_b32 s4, s4, exec_lo
	s_clause 0x1
	global_load_b32 v2, v[6:7], off
	global_load_b32 v4, v[4:5], off
	s_waitcnt vmcnt(0)
	v_cmp_ne_u32_e64 s1, v2, v4
	s_delay_alu instid0(VALU_DEP_1) | instskip(NEXT) | instid1(SALU_CYCLE_1)
	s_and_b32 s1, s1, exec_lo
	s_or_b32 s4, s4, s1
.LBB2_43:                               ;   in Loop: Header=BB2_41 Depth=3
	s_or_b32 exec_lo, exec_lo, s17
	s_delay_alu instid0(VALU_DEP_2)
	s_and_saveexec_b32 s1, s4
	s_cbranch_execz .LBB2_40
; %bb.44:                               ;   in Loop: Header=BB2_41 Depth=3
	v_lshl_add_u32 v2, v3, 2, v23
	v_lshlrev_b32_e32 v3, 4, v3
	ds_add_rtn_u32 v2, v2, v24
	s_waitcnt lgkmcnt(0)
	v_lshlrev_b32_e32 v2, 1, v2
	s_delay_alu instid0(VALU_DEP_1)
	v_add3_u32 v2, v25, v3, v2
	v_lshl_add_u32 v3, v1, 2, v23
	v_lshlrev_b32_e32 v1, 4, v1
	ds_store_b16 v2, v35
	ds_add_rtn_u32 v2, v3, v24
	s_waitcnt lgkmcnt(0)
	v_lshlrev_b32_e32 v2, 1, v2
	s_delay_alu instid0(VALU_DEP_1)
	v_add3_u32 v1, v25, v1, v2
	ds_store_b16 v1, v35
	s_branch .LBB2_40
.LBB2_45:                               ;   in Loop: Header=BB2_10 Depth=2
	s_or_b32 exec_lo, exec_lo, s2
	s_and_saveexec_b32 s1, vcc_lo
	s_cbranch_execz .LBB2_60
; %bb.46:                               ;   in Loop: Header=BB2_10 Depth=2
	v_mov_b32_e32 v1, v9
	s_mov_b32 s2, 0
	s_branch .LBB2_48
.LBB2_47:                               ;   in Loop: Header=BB2_48 Depth=3
	s_or_b32 exec_lo, exec_lo, s3
	v_add_nc_u16 v1, v1, 32
	s_delay_alu instid0(VALU_DEP_1) | instskip(SKIP_1) | instid1(SALU_CYCLE_1)
	v_cmp_ge_i16_e32 vcc_lo, v1, v32
	s_or_b32 s2, vcc_lo, s2
	s_and_not1_b32 exec_lo, exec_lo, s2
	s_cbranch_execz .LBB2_60
.LBB2_48:                               ;   Parent Loop BB2_3 Depth=1
                                        ;     Parent Loop BB2_10 Depth=2
                                        ; =>    This Loop Header: Depth=3
                                        ;         Child Loop BB2_51 Depth 4
                                        ;           Child Loop BB2_56 Depth 5
	s_delay_alu instid0(VALU_DEP_1) | instskip(SKIP_2) | instid1(VALU_DEP_1)
	v_bfe_i32 v1, v1, 0, 16
	s_mov_b32 s3, exec_lo
	s_waitcnt lgkmcnt(0)
	v_lshlrev_b32_e32 v2, 2, v1
	s_delay_alu instid0(VALU_DEP_1)
	v_lshl_add_u32 v2, v10, 11, v2
	ds_load_b32 v6, v2 offset:30720
	s_waitcnt lgkmcnt(0)
	v_cmpx_lt_i32_e32 1, v6
	s_cbranch_execz .LBB2_47
; %bb.49:                               ;   in Loop: Header=BB2_48 Depth=3
	v_ashrrev_i32_e32 v2, 31, v1
	v_add_nc_u32_e32 v35, -1, v6
	v_lshlrev_b32_e32 v36, 4, v1
	s_mov_b32 s17, 0
	s_mov_b32 s4, 0
	v_lshlrev_b64 v[2:3], 2, v[1:2]
	s_delay_alu instid0(VALU_DEP_1) | instskip(SKIP_1) | instid1(VALU_DEP_2)
	v_add_co_u32 v4, vcc_lo, v26, v2
	s_waitcnt vmcnt(0)
	v_add_co_ci_u32_e32 v5, vcc_lo, v27, v3, vcc_lo
	v_add_co_u32 v2, vcc_lo, v28, v2
	v_add_co_ci_u32_e32 v3, vcc_lo, v29, v3, vcc_lo
	global_load_b32 v7, v[4:5], off
	global_load_b32 v34, v[2:3], off
	s_branch .LBB2_51
.LBB2_50:                               ;   in Loop: Header=BB2_51 Depth=4
	s_or_b32 exec_lo, exec_lo, s19
	v_cmp_ge_i32_e32 vcc_lo, s18, v35
	s_or_b32 s4, vcc_lo, s4
	s_delay_alu instid0(SALU_CYCLE_1)
	s_and_not1_b32 exec_lo, exec_lo, s4
	s_cbranch_execz .LBB2_47
.LBB2_51:                               ;   Parent Loop BB2_3 Depth=1
                                        ;     Parent Loop BB2_10 Depth=2
                                        ;       Parent Loop BB2_48 Depth=3
                                        ; =>      This Loop Header: Depth=4
                                        ;           Child Loop BB2_56 Depth 5
	s_sext_i32_i8 s18, s17
	s_delay_alu instid0(SALU_CYCLE_1) | instskip(NEXT) | instid1(SALU_CYCLE_1)
	s_lshl_b32 s18, s18, 1
	v_add3_u32 v2, v25, v36, s18
	s_mov_b32 s18, exec_lo
	ds_load_u16 v2, v2
	s_waitcnt lgkmcnt(0)
	v_bfe_i32 v2, v2, 0, 16
	s_delay_alu instid0(VALU_DEP_1) | instskip(NEXT) | instid1(VALU_DEP_1)
	v_ashrrev_i32_e32 v3, 31, v2
	v_lshlrev_b64 v[3:4], 2, v[2:3]
	s_delay_alu instid0(VALU_DEP_1) | instskip(NEXT) | instid1(VALU_DEP_2)
	v_add_co_u32 v3, vcc_lo, v30, v3
	v_add_co_ci_u32_e32 v4, vcc_lo, v31, v4, vcc_lo
	global_load_u16 v5, v[3:4], off
	s_waitcnt vmcnt(0)
	v_cmpx_eq_u16_e64 v1, v5
	s_cbranch_execz .LBB2_53
; %bb.52:                               ;   in Loop: Header=BB2_51 Depth=4
	global_load_u16 v5, v[3:4], off offset:2
.LBB2_53:                               ;   in Loop: Header=BB2_51 Depth=4
	s_or_b32 exec_lo, exec_lo, s18
	s_and_b32 s17, s17, 0xff
	s_mov_b32 s19, exec_lo
	s_add_i32 s17, s17, 1
	s_delay_alu instid0(SALU_CYCLE_1) | instskip(NEXT) | instid1(SALU_CYCLE_1)
	s_sext_i32_i8 s18, s17
	v_cmpx_lt_i32_e64 s18, v6
	s_cbranch_execz .LBB2_50
; %bb.54:                               ;   in Loop: Header=BB2_51 Depth=4
	s_waitcnt vmcnt(0)
	v_bfe_i32 v3, v5, 0, 16
	v_lshl_add_u32 v41, v2, 2, v16
	s_mov_b32 s20, 0
	s_mov_b32 s21, s17
	s_delay_alu instid0(VALU_DEP_2) | instskip(NEXT) | instid1(VALU_DEP_1)
	v_ashrrev_i32_e32 v4, 31, v3
	v_lshlrev_b64 v[3:4], 2, v[3:4]
	s_delay_alu instid0(VALU_DEP_1) | instskip(NEXT) | instid1(VALU_DEP_2)
	v_add_co_u32 v37, vcc_lo, v26, v3
	v_add_co_ci_u32_e32 v38, vcc_lo, v27, v4, vcc_lo
	v_add_co_u32 v3, vcc_lo, v28, v3
	v_add_co_ci_u32_e32 v4, vcc_lo, v29, v4, vcc_lo
	global_load_b32 v5, v[37:38], off
	global_load_b32 v3, v[3:4], off
	s_waitcnt vmcnt(1)
	v_min_i32_e32 v37, v7, v5
	v_max_i32_e32 v38, v7, v5
	s_waitcnt vmcnt(0)
	v_min_i32_e32 v39, v34, v3
	v_max_i32_e32 v40, v34, v3
	s_branch .LBB2_56
.LBB2_55:                               ;   in Loop: Header=BB2_56 Depth=5
	s_or_b32 exec_lo, exec_lo, s22
	s_and_b32 s21, s21, 0xff
	s_delay_alu instid0(SALU_CYCLE_1) | instskip(NEXT) | instid1(SALU_CYCLE_1)
	s_add_i32 s21, s21, 1
	s_sext_i32_i8 s22, s21
	s_delay_alu instid0(SALU_CYCLE_1) | instskip(SKIP_1) | instid1(SALU_CYCLE_1)
	v_cmp_ge_i32_e32 vcc_lo, s22, v6
	s_or_b32 s20, vcc_lo, s20
	s_and_not1_b32 exec_lo, exec_lo, s20
	s_cbranch_execz .LBB2_50
.LBB2_56:                               ;   Parent Loop BB2_3 Depth=1
                                        ;     Parent Loop BB2_10 Depth=2
                                        ;       Parent Loop BB2_48 Depth=3
                                        ;         Parent Loop BB2_51 Depth=4
                                        ; =>        This Inner Loop Header: Depth=5
	s_sext_i32_i8 s22, s21
	s_delay_alu instid0(SALU_CYCLE_1) | instskip(NEXT) | instid1(SALU_CYCLE_1)
	s_lshl_b32 s22, s22, 1
	v_add3_u32 v3, v25, v36, s22
	s_mov_b32 s22, exec_lo
	ds_load_u16 v3, v3
	s_waitcnt lgkmcnt(0)
	v_bfe_i32 v3, v3, 0, 16
	s_delay_alu instid0(VALU_DEP_1) | instskip(NEXT) | instid1(VALU_DEP_1)
	v_ashrrev_i32_e32 v4, 31, v3
	v_lshlrev_b64 v[4:5], 2, v[3:4]
	s_delay_alu instid0(VALU_DEP_1) | instskip(NEXT) | instid1(VALU_DEP_2)
	v_add_co_u32 v4, vcc_lo, v30, v4
	v_add_co_ci_u32_e32 v5, vcc_lo, v31, v5, vcc_lo
	global_load_u16 v42, v[4:5], off
	s_waitcnt vmcnt(0)
	v_cmpx_eq_u16_e64 v1, v42
	s_cbranch_execz .LBB2_58
; %bb.57:                               ;   in Loop: Header=BB2_56 Depth=5
	global_load_u16 v42, v[4:5], off offset:2
.LBB2_58:                               ;   in Loop: Header=BB2_56 Depth=5
	s_or_b32 exec_lo, exec_lo, s22
	s_waitcnt vmcnt(0)
	v_bfe_i32 v4, v42, 0, 16
	s_mov_b32 s22, exec_lo
	s_delay_alu instid0(VALU_DEP_1) | instskip(NEXT) | instid1(VALU_DEP_1)
	v_ashrrev_i32_e32 v5, 31, v4
	v_lshlrev_b64 v[4:5], 2, v[4:5]
	s_delay_alu instid0(VALU_DEP_1) | instskip(NEXT) | instid1(VALU_DEP_2)
	v_add_co_u32 v42, vcc_lo, v26, v4
	v_add_co_ci_u32_e32 v43, vcc_lo, v27, v5, vcc_lo
	v_add_co_u32 v4, vcc_lo, v28, v4
	v_add_co_ci_u32_e32 v5, vcc_lo, v29, v5, vcc_lo
	global_load_b32 v42, v[42:43], off
	global_load_b32 v4, v[4:5], off
	s_waitcnt vmcnt(1)
	v_minmax_i32 v5, v38, v42, v37
	s_waitcnt vmcnt(0)
	v_minmax_i32 v4, v40, v4, v39
	s_delay_alu instid0(VALU_DEP_2) | instskip(NEXT) | instid1(VALU_DEP_2)
	v_sub_nc_u32_e32 v5, v5, v7
	v_sub_nc_u32_e32 v4, v4, v34
	s_delay_alu instid0(VALU_DEP_2) | instskip(NEXT) | instid1(VALU_DEP_2)
	v_sub_nc_u32_e32 v42, 0, v5
	v_sub_nc_u32_e32 v43, 0, v4
	s_delay_alu instid0(VALU_DEP_2) | instskip(NEXT) | instid1(VALU_DEP_2)
	v_max_i32_e32 v5, v5, v42
	v_max_i32_e32 v4, v4, v43
	s_delay_alu instid0(VALU_DEP_1) | instskip(NEXT) | instid1(VALU_DEP_1)
	v_add_nc_u32_e32 v4, v4, v5
	v_cmpx_ne_u32_e32 0, v4
	s_cbranch_execz .LBB2_55
; %bb.59:                               ;   in Loop: Header=BB2_56 Depth=5
	v_lshlrev_b32_e32 v4, 9, v4
	v_lshl_add_u32 v5, v3, 2, v16
	s_delay_alu instid0(VALU_DEP_2)
	v_add_nc_u32_e32 v3, v4, v3
	v_add_nc_u32_e32 v4, v4, v2
	ds_max_i32 v41, v3
	ds_max_i32 v5, v4
	s_branch .LBB2_55
.LBB2_60:                               ;   in Loop: Header=BB2_10 Depth=2
	s_or_b32 exec_lo, exec_lo, s1
	s_waitcnt vmcnt(0)
	v_dual_mov_b32 v5, v32 :: v_dual_add_nc_u32 v4, -2, v33
	v_mov_b32_e32 v1, v9
	s_mov_b32 s3, 0
                                        ; implicit-def: $sgpr4
                                        ; implicit-def: $vgpr2
                                        ; implicit-def: $vgpr3
	s_branch .LBB2_63
.LBB2_61:                               ;   in Loop: Header=BB2_63 Depth=3
	s_or_b32 exec_lo, exec_lo, s3
	s_bcnt1_i32_b32 s1, vcc_lo
	v_add_nc_u16 v1, v1, 32
	v_add_nc_u16 v5, v32, s1
	s_mov_b32 s1, 0
.LBB2_62:                               ;   in Loop: Header=BB2_63 Depth=3
	s_and_not1_b32 s3, s2, exec_lo
	s_and_b32 s17, s4, exec_lo
	s_and_b32 vcc_lo, exec_lo, s1
	s_or_b32 s3, s3, s17
	s_cbranch_vccnz .LBB2_9
.LBB2_63:                               ;   Parent Loop BB2_3 Depth=1
                                        ;     Parent Loop BB2_10 Depth=2
                                        ; =>    This Inner Loop Header: Depth=3
	s_delay_alu instid0(VALU_DEP_1) | instskip(SKIP_3) | instid1(VALU_DEP_2)
	v_bfe_i32 v1, v1, 0, 16
	v_mov_b32_e32 v32, v5
	s_mov_b32 s2, s3
	s_and_not1_b32 s4, s4, exec_lo
	v_cmp_gt_i32_e64 s1, v4, v1
	s_delay_alu instid0(VALU_DEP_1) | instskip(SKIP_1) | instid1(VALU_DEP_1)
	v_cndmask_b32_e64 v6, 0, 1, s1
	;;#ASMSTART
	;;#ASMEND
	v_cmp_ne_u32_e32 vcc_lo, 0, v6
	s_cbranch_vccz .LBB2_76
; %bb.64:                               ;   in Loop: Header=BB2_63 Depth=3
	s_mov_b32 s17, 0
	s_mov_b32 s4, s2
	s_and_saveexec_b32 s3, s1
	s_cbranch_execz .LBB2_74
; %bb.65:                               ;   in Loop: Header=BB2_63 Depth=3
	v_lshl_add_u32 v5, v1, 2, v16
	s_mov_b32 s18, s2
	ds_load_b32 v6, v5
	s_waitcnt lgkmcnt(0)
	v_and_b32_e32 v5, 0x1ff, v6
	v_cmp_lt_i32_e32 vcc_lo, 0, v6
	s_delay_alu instid0(VALU_DEP_2) | instskip(NEXT) | instid1(VALU_DEP_1)
	v_cmp_gt_i32_e64 s1, v5, v1
	s_and_b32 s1, vcc_lo, s1
	s_delay_alu instid0(SALU_CYCLE_1)
	s_and_saveexec_b32 s4, s1
	s_cbranch_execz .LBB2_73
; %bb.66:                               ;   in Loop: Header=BB2_63 Depth=3
	v_lshl_add_u32 v6, v5, 2, v16
	s_mov_b32 s1, 0
	s_mov_b32 s18, s2
	s_mov_b32 s17, exec_lo
	ds_load_b32 v6, v6
	s_waitcnt lgkmcnt(0)
	v_ashrrev_i32_e32 v7, 31, v6
	s_delay_alu instid0(VALU_DEP_1) | instskip(NEXT) | instid1(VALU_DEP_1)
	v_lshrrev_b32_e32 v7, 23, v7
	v_add_nc_u32_e32 v7, v6, v7
	s_delay_alu instid0(VALU_DEP_1) | instskip(NEXT) | instid1(VALU_DEP_1)
	v_and_b32_e32 v7, 0xfffffe00, v7
	v_sub_nc_u32_e32 v6, v6, v7
	s_delay_alu instid0(VALU_DEP_1)
	v_cmpx_eq_u32_e64 v6, v1
	s_cbranch_execz .LBB2_72
; %bb.67:                               ;   in Loop: Header=BB2_63 Depth=3
	v_ashrrev_i32_e32 v2, 31, v1
	v_lshlrev_b32_e32 v7, 2, v5
	s_delay_alu instid0(VALU_DEP_2) | instskip(NEXT) | instid1(VALU_DEP_1)
	v_lshlrev_b64 v[2:3], 2, v[1:2]
	v_add_co_u32 v5, vcc_lo, v30, v2
	s_delay_alu instid0(VALU_DEP_2) | instskip(NEXT) | instid1(VALU_DEP_4)
	v_add_co_ci_u32_e32 v6, vcc_lo, v31, v3, vcc_lo
	v_add_co_u32 v2, vcc_lo, v30, v7
	v_add_co_ci_u32_e32 v3, vcc_lo, 0, v31, vcc_lo
	s_clause 0x1
	global_load_b32 v5, v[5:6], off
	global_load_u16 v6, v[2:3], off
	s_waitcnt vmcnt(1)
	v_lshrrev_b32_e32 v7, 16, v5
	v_bfe_i32 v5, v5, 0, 16
	s_waitcnt vmcnt(0)
	v_bfe_i32 v33, v6, 0, 16
	s_delay_alu instid0(VALU_DEP_3) | instskip(NEXT) | instid1(VALU_DEP_3)
	v_bfe_i32 v35, v7, 0, 16
	v_ashrrev_i32_e32 v6, 31, v5
	s_delay_alu instid0(VALU_DEP_3) | instskip(NEXT) | instid1(VALU_DEP_3)
	v_ashrrev_i32_e32 v34, 31, v33
	v_ashrrev_i32_e32 v36, 31, v35
	s_delay_alu instid0(VALU_DEP_3) | instskip(NEXT) | instid1(VALU_DEP_3)
	v_lshlrev_b64 v[5:6], 2, v[5:6]
	v_lshlrev_b64 v[33:34], 2, v[33:34]
	s_delay_alu instid0(VALU_DEP_3) | instskip(NEXT) | instid1(VALU_DEP_3)
	v_lshlrev_b64 v[36:37], 2, v[35:36]
	v_add_co_u32 v38, vcc_lo, v26, v5
	s_delay_alu instid0(VALU_DEP_4)
	v_add_co_ci_u32_e32 v39, vcc_lo, v27, v6, vcc_lo
	v_add_co_u32 v40, vcc_lo, v28, v5
	v_add_co_ci_u32_e32 v41, vcc_lo, v29, v6, vcc_lo
	v_add_co_u32 v42, vcc_lo, v26, v33
	;; [unrolled: 2-line block ×3, first 2 shown]
	v_add_co_ci_u32_e32 v45, vcc_lo, v29, v34, vcc_lo
	global_load_b32 v5, v[38:39], off
	global_load_b32 v6, v[40:41], off
	v_add_co_u32 v38, vcc_lo, v26, v36
	global_load_b32 v34, v[42:43], off
	global_load_b32 v35, v[44:45], off
	v_add_co_ci_u32_e32 v39, vcc_lo, v27, v37, vcc_lo
	v_add_co_u32 v36, vcc_lo, v28, v36
	v_add_co_ci_u32_e32 v37, vcc_lo, v29, v37, vcc_lo
	global_load_b32 v7, v[38:39], off
	global_load_b32 v33, v[36:37], off
	s_waitcnt vmcnt(3)
	v_cmp_eq_u32_e32 vcc_lo, v34, v5
	s_waitcnt vmcnt(2)
	v_cmp_eq_u32_e64 s1, v35, v6
	s_delay_alu instid0(VALU_DEP_1) | instskip(NEXT) | instid1(SALU_CYCLE_1)
	s_and_b32 s18, vcc_lo, s1
	s_xor_b32 s1, s18, -1
	s_delay_alu instid0(SALU_CYCLE_1)
	s_and_saveexec_b32 s19, s1
	s_cbranch_execz .LBB2_69
; %bb.68:                               ;   in Loop: Header=BB2_63 Depth=3
	s_waitcnt vmcnt(1)
	v_cmp_eq_u32_e32 vcc_lo, v34, v7
	s_waitcnt vmcnt(0)
	v_cmp_eq_u32_e64 s1, v35, v33
	s_and_not1_b32 s18, s18, exec_lo
	s_delay_alu instid0(VALU_DEP_1) | instskip(NEXT) | instid1(SALU_CYCLE_1)
	s_and_b32 s1, vcc_lo, s1
	s_and_b32 s1, s1, exec_lo
	s_delay_alu instid0(SALU_CYCLE_1)
	s_or_b32 s18, s18, s1
.LBB2_69:                               ;   in Loop: Header=BB2_63 Depth=3
	s_or_b32 exec_lo, exec_lo, s19
	s_and_saveexec_b32 s1, s18
	s_cbranch_execz .LBB2_71
; %bb.70:                               ;   in Loop: Header=BB2_63 Depth=3
	global_load_u16 v2, v[2:3], off offset:2
	s_waitcnt vmcnt(0)
	v_bfe_i32 v2, v2, 0, 16
	s_delay_alu instid0(VALU_DEP_1) | instskip(NEXT) | instid1(VALU_DEP_1)
	v_ashrrev_i32_e32 v3, 31, v2
	v_lshlrev_b64 v[2:3], 2, v[2:3]
	s_delay_alu instid0(VALU_DEP_1) | instskip(NEXT) | instid1(VALU_DEP_2)
	v_add_co_u32 v34, vcc_lo, v26, v2
	v_add_co_ci_u32_e32 v35, vcc_lo, v27, v3, vcc_lo
	v_add_co_u32 v2, vcc_lo, v28, v2
	v_add_co_ci_u32_e32 v3, vcc_lo, v29, v3, vcc_lo
	global_load_b32 v34, v[34:35], off
	global_load_b32 v35, v[2:3], off
.LBB2_71:                               ;   in Loop: Header=BB2_63 Depth=3
	s_or_b32 exec_lo, exec_lo, s1
	s_waitcnt vmcnt(1)
	v_med3_i32 v2, v5, v7, v34
	s_waitcnt vmcnt(0)
	v_med3_i32 v3, v6, v33, v35
	s_mov_b32 s1, exec_lo
	s_or_b32 s18, s2, exec_lo
.LBB2_72:                               ;   in Loop: Header=BB2_63 Depth=3
	s_or_b32 exec_lo, exec_lo, s17
	s_delay_alu instid0(SALU_CYCLE_1) | instskip(SKIP_1) | instid1(SALU_CYCLE_1)
	s_and_not1_b32 s17, s2, exec_lo
	s_and_b32 s18, s18, exec_lo
	s_or_b32 s18, s17, s18
	s_and_b32 s17, s1, exec_lo
.LBB2_73:                               ;   in Loop: Header=BB2_63 Depth=3
	s_or_b32 exec_lo, exec_lo, s4
	s_delay_alu instid0(SALU_CYCLE_1)
	s_and_not1_b32 s1, s2, exec_lo
	s_and_b32 s4, s18, exec_lo
	s_and_b32 s17, s17, exec_lo
	s_or_b32 s4, s1, s4
.LBB2_74:                               ;   in Loop: Header=BB2_63 Depth=3
	s_or_b32 exec_lo, exec_lo, s3
	v_cndmask_b32_e64 v5, 0, 1, s17
	s_delay_alu instid0(VALU_DEP_1)
	v_cmp_ne_u32_e32 vcc_lo, 0, v5
	s_and_saveexec_b32 s3, s17
	s_cbranch_execz .LBB2_61
; %bb.75:                               ;   in Loop: Header=BB2_63 Depth=3
	v_and_b32_e32 v5, vcc_lo, v18
	v_bfe_i32 v6, v32, 0, 16
	s_delay_alu instid0(VALU_DEP_2) | instskip(NEXT) | instid1(VALU_DEP_2)
	v_bcnt_u32_b32 v5, v5, 0
	v_ashrrev_i32_e32 v7, 31, v6
	s_delay_alu instid0(VALU_DEP_2) | instskip(NEXT) | instid1(VALU_DEP_1)
	v_add_co_u32 v5, s1, v5, v6
	v_add_co_ci_u32_e64 v6, s1, 0, v7, s1
	s_delay_alu instid0(VALU_DEP_1) | instskip(NEXT) | instid1(VALU_DEP_1)
	v_lshlrev_b64 v[5:6], 2, v[5:6]
	v_add_co_u32 v33, s1, v26, v5
	s_delay_alu instid0(VALU_DEP_1) | instskip(SKIP_1) | instid1(VALU_DEP_1)
	v_add_co_ci_u32_e64 v34, s1, v27, v6, s1
	v_add_co_u32 v5, s1, v28, v5
	v_add_co_ci_u32_e64 v6, s1, v29, v6, s1
	s_waitcnt lgkmcnt(0)
	global_store_b32 v[33:34], v2, off
	global_store_b32 v[5:6], v3, off
	s_branch .LBB2_61
.LBB2_76:                               ;   in Loop: Header=BB2_63 Depth=3
	s_mov_b32 s1, -1
                                        ; implicit-def: $vgpr1
                                        ; implicit-def: $vgpr3
                                        ; implicit-def: $vgpr2
                                        ; implicit-def: $vgpr5
	s_branch .LBB2_62
.LBB2_77:
	s_nop 0
	s_sendmsg sendmsg(MSG_DEALLOC_VGPRS)
	s_endpgm
	.section	.rodata,"a",@progbits
	.p2align	6, 0x0
	.amdhsa_kernel _ZL14smallNetKernelILi3ELi512EEvPKiPiS2_P4edgeS2_
		.amdhsa_group_segment_fixed_size 43020
		.amdhsa_private_segment_fixed_size 0
		.amdhsa_kernarg_size 40
		.amdhsa_user_sgpr_count 15
		.amdhsa_user_sgpr_dispatch_ptr 0
		.amdhsa_user_sgpr_queue_ptr 0
		.amdhsa_user_sgpr_kernarg_segment_ptr 1
		.amdhsa_user_sgpr_dispatch_id 0
		.amdhsa_user_sgpr_private_segment_size 0
		.amdhsa_wavefront_size32 1
		.amdhsa_uses_dynamic_stack 0
		.amdhsa_enable_private_segment 0
		.amdhsa_system_sgpr_workgroup_id_x 1
		.amdhsa_system_sgpr_workgroup_id_y 0
		.amdhsa_system_sgpr_workgroup_id_z 0
		.amdhsa_system_sgpr_workgroup_info 0
		.amdhsa_system_vgpr_workitem_id 0
		.amdhsa_next_free_vgpr 46
		.amdhsa_next_free_sgpr 23
		.amdhsa_reserve_vcc 1
		.amdhsa_float_round_mode_32 0
		.amdhsa_float_round_mode_16_64 0
		.amdhsa_float_denorm_mode_32 3
		.amdhsa_float_denorm_mode_16_64 3
		.amdhsa_dx10_clamp 1
		.amdhsa_ieee_mode 1
		.amdhsa_fp16_overflow 0
		.amdhsa_workgroup_processor_mode 1
		.amdhsa_memory_ordered 1
		.amdhsa_forward_progress 0
		.amdhsa_shared_vgpr_count 0
		.amdhsa_exception_fp_ieee_invalid_op 0
		.amdhsa_exception_fp_denorm_src 0
		.amdhsa_exception_fp_ieee_div_zero 0
		.amdhsa_exception_fp_ieee_overflow 0
		.amdhsa_exception_fp_ieee_underflow 0
		.amdhsa_exception_fp_ieee_inexact 0
		.amdhsa_exception_int_div_zero 0
	.end_amdhsa_kernel
	.section	.text._ZL14smallNetKernelILi3ELi512EEvPKiPiS2_P4edgeS2_,"axG",@progbits,_ZL14smallNetKernelILi3ELi512EEvPKiPiS2_P4edgeS2_,comdat
.Lfunc_end2:
	.size	_ZL14smallNetKernelILi3ELi512EEvPKiPiS2_P4edgeS2_, .Lfunc_end2-_ZL14smallNetKernelILi3ELi512EEvPKiPiS2_P4edgeS2_
                                        ; -- End function
	.section	.AMDGPU.csdata,"",@progbits
; Kernel info:
; codeLenInByte = 4284
; NumSgprs: 25
; NumVgprs: 46
; ScratchSize: 0
; MemoryBound: 0
; FloatMode: 240
; IeeeMode: 1
; LDSByteSize: 43020 bytes/workgroup (compile time only)
; SGPRBlocks: 3
; VGPRBlocks: 5
; NumSGPRsForWavesPerEU: 25
; NumVGPRsForWavesPerEU: 46
; Occupancy: 3
; WaveLimiterHint : 1
; COMPUTE_PGM_RSRC2:SCRATCH_EN: 0
; COMPUTE_PGM_RSRC2:USER_SGPR: 15
; COMPUTE_PGM_RSRC2:TRAP_HANDLER: 0
; COMPUTE_PGM_RSRC2:TGID_X_EN: 1
; COMPUTE_PGM_RSRC2:TGID_Y_EN: 0
; COMPUTE_PGM_RSRC2:TGID_Z_EN: 0
; COMPUTE_PGM_RSRC2:TIDIG_COMP_CNT: 0
	.text
	.p2alignl 7, 3214868480
	.fill 96, 4, 3214868480
	.type	_ZL8currpos1,@object            ; @_ZL8currpos1
	.local	_ZL8currpos1
	.comm	_ZL8currpos1,4,2
	.type	_ZL6wlsize,@object              ; @_ZL6wlsize
	.local	_ZL6wlsize
	.comm	_ZL6wlsize,4,2
	.type	_ZL8currpos2,@object            ; @_ZL8currpos2
	.local	_ZL8currpos2
	.comm	_ZL8currpos2,4,2
	.type	__hip_cuid_c7cb0f56063d1f96,@object ; @__hip_cuid_c7cb0f56063d1f96
	.section	.bss,"aw",@nobits
	.globl	__hip_cuid_c7cb0f56063d1f96
__hip_cuid_c7cb0f56063d1f96:
	.byte	0                               ; 0x0
	.size	__hip_cuid_c7cb0f56063d1f96, 1

	.ident	"AMD clang version 19.0.0git (https://github.com/RadeonOpenCompute/llvm-project roc-6.4.0 25133 c7fe45cf4b819c5991fe208aaa96edf142730f1d)"
	.section	".note.GNU-stack","",@progbits
	.addrsig
	.addrsig_sym _ZL8currpos1
	.addrsig_sym _ZL6wlsize
	.addrsig_sym _ZL8currpos2
	.addrsig_sym __hip_cuid_c7cb0f56063d1f96
	.amdgpu_metadata
---
amdhsa.kernels:
  - .args:
      - .actual_access:  read_only
        .address_space:  global
        .offset:         0
        .size:           8
        .value_kind:     global_buffer
      - .actual_access:  read_only
        .address_space:  global
        .offset:         8
        .size:           8
        .value_kind:     global_buffer
      - .actual_access:  read_only
        .address_space:  global
        .offset:         16
        .size:           8
        .value_kind:     global_buffer
      - .actual_access:  write_only
        .address_space:  global
        .offset:         24
        .size:           8
        .value_kind:     global_buffer
      - .address_space:  global
        .offset:         32
        .size:           8
        .value_kind:     global_buffer
      - .address_space:  global
        .offset:         40
        .size:           8
        .value_kind:     global_buffer
      - .address_space:  global
        .offset:         48
        .size:           8
        .value_kind:     global_buffer
      - .offset:         56
        .size:           4
        .value_kind:     by_value
      - .actual_access:  write_only
        .address_space:  global
        .offset:         64
        .size:           8
        .value_kind:     global_buffer
    .group_segment_fixed_size: 21552
    .kernarg_segment_align: 8
    .kernarg_segment_size: 72
    .language:       OpenCL C
    .language_version:
      - 2
      - 0
    .max_flat_workgroup_size: 384
    .name:           _ZL14largeNetKernelILi12ELi64EEvPKiS1_S1_PiS2_S2_P4edgeiS2_
    .private_segment_fixed_size: 0
    .sgpr_count:     42
    .sgpr_spill_count: 0
    .symbol:         _ZL14largeNetKernelILi12ELi64EEvPKiS1_S1_PiS2_S2_P4edgeiS2_.kd
    .uniform_work_group_size: 1
    .uses_dynamic_stack: false
    .vgpr_count:     47
    .vgpr_spill_count: 0
    .wavefront_size: 32
    .workgroup_processor_mode: 1
  - .args:
      - .actual_access:  read_only
        .address_space:  global
        .offset:         0
        .size:           8
        .value_kind:     global_buffer
      - .actual_access:  read_only
        .address_space:  global
        .offset:         8
        .size:           8
        .value_kind:     global_buffer
      - .actual_access:  read_only
        .address_space:  global
        .offset:         16
        .size:           8
        .value_kind:     global_buffer
      - .actual_access:  write_only
        .address_space:  global
        .offset:         24
        .size:           8
        .value_kind:     global_buffer
      - .address_space:  global
        .offset:         32
        .size:           8
        .value_kind:     global_buffer
      - .address_space:  global
        .offset:         40
        .size:           8
        .value_kind:     global_buffer
      - .address_space:  global
        .offset:         48
        .size:           8
        .value_kind:     global_buffer
      - .offset:         56
        .size:           4
        .value_kind:     by_value
      - .actual_access:  write_only
        .address_space:  global
        .offset:         64
        .size:           8
        .value_kind:     global_buffer
    .group_segment_fixed_size: 43104
    .kernarg_segment_align: 8
    .kernarg_segment_size: 72
    .language:       OpenCL C
    .language_version:
      - 2
      - 0
    .max_flat_workgroup_size: 768
    .name:           _ZL14largeNetKernelILi24ELi64EEvPKiS1_S1_PiS2_S2_P4edgeiS2_
    .private_segment_fixed_size: 0
    .sgpr_count:     42
    .sgpr_spill_count: 0
    .symbol:         _ZL14largeNetKernelILi24ELi64EEvPKiS1_S1_PiS2_S2_P4edgeiS2_.kd
    .uniform_work_group_size: 1
    .uses_dynamic_stack: false
    .vgpr_count:     48
    .vgpr_spill_count: 0
    .wavefront_size: 32
    .workgroup_processor_mode: 1
  - .args:
      - .actual_access:  read_only
        .address_space:  global
        .offset:         0
        .size:           8
        .value_kind:     global_buffer
      - .address_space:  global
        .offset:         8
        .size:           8
        .value_kind:     global_buffer
      - .address_space:  global
        .offset:         16
        .size:           8
        .value_kind:     global_buffer
      - .address_space:  global
        .offset:         24
        .size:           8
        .value_kind:     global_buffer
      - .actual_access:  read_only
        .address_space:  global
        .offset:         32
        .size:           8
        .value_kind:     global_buffer
    .group_segment_fixed_size: 43020
    .kernarg_segment_align: 8
    .kernarg_segment_size: 40
    .language:       OpenCL C
    .language_version:
      - 2
      - 0
    .max_flat_workgroup_size: 96
    .name:           _ZL14smallNetKernelILi3ELi512EEvPKiPiS2_P4edgeS2_
    .private_segment_fixed_size: 0
    .sgpr_count:     25
    .sgpr_spill_count: 0
    .symbol:         _ZL14smallNetKernelILi3ELi512EEvPKiPiS2_P4edgeS2_.kd
    .uniform_work_group_size: 1
    .uses_dynamic_stack: false
    .vgpr_count:     46
    .vgpr_spill_count: 0
    .wavefront_size: 32
    .workgroup_processor_mode: 1
amdhsa.target:   amdgcn-amd-amdhsa--gfx1100
amdhsa.version:
  - 1
  - 2
...

	.end_amdgpu_metadata
